;; amdgpu-corpus repo=ROCm/composable_kernel kind=compiled arch=gfx1201 opt=O3
	.amdgcn_target "amdgcn-amd-amdhsa--gfx1201"
	.amdhsa_code_object_version 6
	.section	.text._ZN2ckL12flush_icacheEv,"axG",@progbits,_ZN2ckL12flush_icacheEv,comdat
	.globl	_ZN2ckL12flush_icacheEv         ; -- Begin function _ZN2ckL12flush_icacheEv
	.p2align	8
	.type	_ZN2ckL12flush_icacheEv,@function
_ZN2ckL12flush_icacheEv:                ; @_ZN2ckL12flush_icacheEv
; %bb.0:
	;;#ASMSTART
	s_icache_inv 
	s_nop 0 
	s_nop 0 
	;; [unrolled: 1-line block ×16, first 2 shown]
	
	;;#ASMEND
	s_endpgm
	.section	.rodata,"a",@progbits
	.p2align	6, 0x0
	.amdhsa_kernel _ZN2ckL12flush_icacheEv
		.amdhsa_group_segment_fixed_size 0
		.amdhsa_private_segment_fixed_size 0
		.amdhsa_kernarg_size 0
		.amdhsa_user_sgpr_count 0
		.amdhsa_user_sgpr_dispatch_ptr 0
		.amdhsa_user_sgpr_queue_ptr 0
		.amdhsa_user_sgpr_kernarg_segment_ptr 0
		.amdhsa_user_sgpr_dispatch_id 0
		.amdhsa_user_sgpr_private_segment_size 0
		.amdhsa_wavefront_size32 1
		.amdhsa_uses_dynamic_stack 0
		.amdhsa_enable_private_segment 0
		.amdhsa_system_sgpr_workgroup_id_x 1
		.amdhsa_system_sgpr_workgroup_id_y 0
		.amdhsa_system_sgpr_workgroup_id_z 0
		.amdhsa_system_sgpr_workgroup_info 0
		.amdhsa_system_vgpr_workitem_id 0
		.amdhsa_next_free_vgpr 1
		.amdhsa_next_free_sgpr 1
		.amdhsa_reserve_vcc 0
		.amdhsa_float_round_mode_32 0
		.amdhsa_float_round_mode_16_64 0
		.amdhsa_float_denorm_mode_32 3
		.amdhsa_float_denorm_mode_16_64 3
		.amdhsa_fp16_overflow 0
		.amdhsa_workgroup_processor_mode 1
		.amdhsa_memory_ordered 1
		.amdhsa_forward_progress 1
		.amdhsa_inst_pref_size 1
		.amdhsa_round_robin_scheduling 0
		.amdhsa_exception_fp_ieee_invalid_op 0
		.amdhsa_exception_fp_denorm_src 0
		.amdhsa_exception_fp_ieee_div_zero 0
		.amdhsa_exception_fp_ieee_overflow 0
		.amdhsa_exception_fp_ieee_underflow 0
		.amdhsa_exception_fp_ieee_inexact 0
		.amdhsa_exception_int_div_zero 0
	.end_amdhsa_kernel
	.section	.text._ZN2ckL12flush_icacheEv,"axG",@progbits,_ZN2ckL12flush_icacheEv,comdat
.Lfunc_end0:
	.size	_ZN2ckL12flush_icacheEv, .Lfunc_end0-_ZN2ckL12flush_icacheEv
                                        ; -- End function
	.set _ZN2ckL12flush_icacheEv.num_vgpr, 0
	.set _ZN2ckL12flush_icacheEv.num_agpr, 0
	.set _ZN2ckL12flush_icacheEv.numbered_sgpr, 0
	.set _ZN2ckL12flush_icacheEv.num_named_barrier, 0
	.set _ZN2ckL12flush_icacheEv.private_seg_size, 0
	.set _ZN2ckL12flush_icacheEv.uses_vcc, 0
	.set _ZN2ckL12flush_icacheEv.uses_flat_scratch, 0
	.set _ZN2ckL12flush_icacheEv.has_dyn_sized_stack, 0
	.set _ZN2ckL12flush_icacheEv.has_recursion, 0
	.set _ZN2ckL12flush_icacheEv.has_indirect_call, 0
	.section	.AMDGPU.csdata,"",@progbits
; Kernel info:
; codeLenInByte = 4
; TotalNumSgprs: 0
; NumVgprs: 0
; ScratchSize: 0
; MemoryBound: 0
; FloatMode: 240
; IeeeMode: 1
; LDSByteSize: 0 bytes/workgroup (compile time only)
; SGPRBlocks: 0
; VGPRBlocks: 0
; NumSGPRsForWavesPerEU: 1
; NumVGPRsForWavesPerEU: 1
; Occupancy: 16
; WaveLimiterHint : 0
; COMPUTE_PGM_RSRC2:SCRATCH_EN: 0
; COMPUTE_PGM_RSRC2:USER_SGPR: 0
; COMPUTE_PGM_RSRC2:TRAP_HANDLER: 0
; COMPUTE_PGM_RSRC2:TGID_X_EN: 1
; COMPUTE_PGM_RSRC2:TGID_Y_EN: 0
; COMPUTE_PGM_RSRC2:TGID_Z_EN: 0
; COMPUTE_PGM_RSRC2:TIDIG_COMP_CNT: 0
	.section	.text._ZN2ck16kernel_gemm_wmmaINS_17GridwiseGemm_WmmaILi128EaaiiaLNS_25InMemoryDataOperationEnumE0ENS_16TensorDescriptorINS_5TupleIJNS_5EmbedINS4_IJiiEEENS4_IJiNS_17integral_constantIiLi1EEEEEELb0EEENS_8RightPadIiiLb0EEESC_NS_7UnMergeINS4_IJiNS7_IiLi2EEEEEELb0EEENS_11PassThroughIiEEEEENS4_IJNS_8SequenceIJLi0EEEENSK_IJLi1EEEENSK_IJLi2EEEENSK_IJLi4EEEENSK_IJLi3EEEEEEENS4_IJNSK_IJLi1ELi2EEEESP_SO_NSK_IJLi5ELi6EEEENSK_IJLi7EEEEEEENSK_IJLi5ELi7ELi6EEEElEESW_NS3_INS4_IJSA_SC_SC_EEENS4_IJSL_SM_SN_EEENS4_IJSR_SP_SO_EEENSK_IJLi3ELi4EEEElEENS_16tensor_operation12element_wise11PassThroughES14_S14_Li64ELi128ELi64ELi16ELi16ELi2ELi2ELi4ENSK_IJLi4ELi32ELi1EEEENSK_IJLi1ELi0ELi2EEEES16_Li2ELi2ELi2ELb0ELb1ELb1ES15_S16_S16_Li2ELi2ELi2ELb0ELb1ELb1ELi1ELi1ENSK_IJLi1ELi32ELi1ELi4EEEELi8ELi1ELNS_13LoopSchedulerE0ELNS_15PipelineVersionE0EEEaaaSW_SW_NS3_INS4_IJSA_SC_SC_NSD_INS4_IJiNS7_IiLi64EEEEEELb0EEENSD_INS4_IJiNS7_IiLi128EEEEEELb0EEEEEENS4_IJSL_SM_SN_SP_SO_EEENS4_IJSR_SP_SO_SS_NSK_IJLi7ELi8EEEEEEENSK_IJLi5ELi6ELi7ELi8EEEElEES14_S14_S14_NS_31BlockToCTileMap_M00_N0_M01AdaptILi64ELi128ES11_iEELb1EEEvPKT0_PKT1_PT2_T3_T4_T5_T6_T7_T8_T9_,"axG",@progbits,_ZN2ck16kernel_gemm_wmmaINS_17GridwiseGemm_WmmaILi128EaaiiaLNS_25InMemoryDataOperationEnumE0ENS_16TensorDescriptorINS_5TupleIJNS_5EmbedINS4_IJiiEEENS4_IJiNS_17integral_constantIiLi1EEEEEELb0EEENS_8RightPadIiiLb0EEESC_NS_7UnMergeINS4_IJiNS7_IiLi2EEEEEELb0EEENS_11PassThroughIiEEEEENS4_IJNS_8SequenceIJLi0EEEENSK_IJLi1EEEENSK_IJLi2EEEENSK_IJLi4EEEENSK_IJLi3EEEEEEENS4_IJNSK_IJLi1ELi2EEEESP_SO_NSK_IJLi5ELi6EEEENSK_IJLi7EEEEEEENSK_IJLi5ELi7ELi6EEEElEESW_NS3_INS4_IJSA_SC_SC_EEENS4_IJSL_SM_SN_EEENS4_IJSR_SP_SO_EEENSK_IJLi3ELi4EEEElEENS_16tensor_operation12element_wise11PassThroughES14_S14_Li64ELi128ELi64ELi16ELi16ELi2ELi2ELi4ENSK_IJLi4ELi32ELi1EEEENSK_IJLi1ELi0ELi2EEEES16_Li2ELi2ELi2ELb0ELb1ELb1ES15_S16_S16_Li2ELi2ELi2ELb0ELb1ELb1ELi1ELi1ENSK_IJLi1ELi32ELi1ELi4EEEELi8ELi1ELNS_13LoopSchedulerE0ELNS_15PipelineVersionE0EEEaaaSW_SW_NS3_INS4_IJSA_SC_SC_NSD_INS4_IJiNS7_IiLi64EEEEEELb0EEENSD_INS4_IJiNS7_IiLi128EEEEEELb0EEEEEENS4_IJSL_SM_SN_SP_SO_EEENS4_IJSR_SP_SO_SS_NSK_IJLi7ELi8EEEEEEENSK_IJLi5ELi6ELi7ELi8EEEElEES14_S14_S14_NS_31BlockToCTileMap_M00_N0_M01AdaptILi64ELi128ES11_iEELb1EEEvPKT0_PKT1_PT2_T3_T4_T5_T6_T7_T8_T9_,comdat
	.protected	_ZN2ck16kernel_gemm_wmmaINS_17GridwiseGemm_WmmaILi128EaaiiaLNS_25InMemoryDataOperationEnumE0ENS_16TensorDescriptorINS_5TupleIJNS_5EmbedINS4_IJiiEEENS4_IJiNS_17integral_constantIiLi1EEEEEELb0EEENS_8RightPadIiiLb0EEESC_NS_7UnMergeINS4_IJiNS7_IiLi2EEEEEELb0EEENS_11PassThroughIiEEEEENS4_IJNS_8SequenceIJLi0EEEENSK_IJLi1EEEENSK_IJLi2EEEENSK_IJLi4EEEENSK_IJLi3EEEEEEENS4_IJNSK_IJLi1ELi2EEEESP_SO_NSK_IJLi5ELi6EEEENSK_IJLi7EEEEEEENSK_IJLi5ELi7ELi6EEEElEESW_NS3_INS4_IJSA_SC_SC_EEENS4_IJSL_SM_SN_EEENS4_IJSR_SP_SO_EEENSK_IJLi3ELi4EEEElEENS_16tensor_operation12element_wise11PassThroughES14_S14_Li64ELi128ELi64ELi16ELi16ELi2ELi2ELi4ENSK_IJLi4ELi32ELi1EEEENSK_IJLi1ELi0ELi2EEEES16_Li2ELi2ELi2ELb0ELb1ELb1ES15_S16_S16_Li2ELi2ELi2ELb0ELb1ELb1ELi1ELi1ENSK_IJLi1ELi32ELi1ELi4EEEELi8ELi1ELNS_13LoopSchedulerE0ELNS_15PipelineVersionE0EEEaaaSW_SW_NS3_INS4_IJSA_SC_SC_NSD_INS4_IJiNS7_IiLi64EEEEEELb0EEENSD_INS4_IJiNS7_IiLi128EEEEEELb0EEEEEENS4_IJSL_SM_SN_SP_SO_EEENS4_IJSR_SP_SO_SS_NSK_IJLi7ELi8EEEEEEENSK_IJLi5ELi6ELi7ELi8EEEElEES14_S14_S14_NS_31BlockToCTileMap_M00_N0_M01AdaptILi64ELi128ES11_iEELb1EEEvPKT0_PKT1_PT2_T3_T4_T5_T6_T7_T8_T9_ ; -- Begin function _ZN2ck16kernel_gemm_wmmaINS_17GridwiseGemm_WmmaILi128EaaiiaLNS_25InMemoryDataOperationEnumE0ENS_16TensorDescriptorINS_5TupleIJNS_5EmbedINS4_IJiiEEENS4_IJiNS_17integral_constantIiLi1EEEEEELb0EEENS_8RightPadIiiLb0EEESC_NS_7UnMergeINS4_IJiNS7_IiLi2EEEEEELb0EEENS_11PassThroughIiEEEEENS4_IJNS_8SequenceIJLi0EEEENSK_IJLi1EEEENSK_IJLi2EEEENSK_IJLi4EEEENSK_IJLi3EEEEEEENS4_IJNSK_IJLi1ELi2EEEESP_SO_NSK_IJLi5ELi6EEEENSK_IJLi7EEEEEEENSK_IJLi5ELi7ELi6EEEElEESW_NS3_INS4_IJSA_SC_SC_EEENS4_IJSL_SM_SN_EEENS4_IJSR_SP_SO_EEENSK_IJLi3ELi4EEEElEENS_16tensor_operation12element_wise11PassThroughES14_S14_Li64ELi128ELi64ELi16ELi16ELi2ELi2ELi4ENSK_IJLi4ELi32ELi1EEEENSK_IJLi1ELi0ELi2EEEES16_Li2ELi2ELi2ELb0ELb1ELb1ES15_S16_S16_Li2ELi2ELi2ELb0ELb1ELb1ELi1ELi1ENSK_IJLi1ELi32ELi1ELi4EEEELi8ELi1ELNS_13LoopSchedulerE0ELNS_15PipelineVersionE0EEEaaaSW_SW_NS3_INS4_IJSA_SC_SC_NSD_INS4_IJiNS7_IiLi64EEEEEELb0EEENSD_INS4_IJiNS7_IiLi128EEEEEELb0EEEEEENS4_IJSL_SM_SN_SP_SO_EEENS4_IJSR_SP_SO_SS_NSK_IJLi7ELi8EEEEEEENSK_IJLi5ELi6ELi7ELi8EEEElEES14_S14_S14_NS_31BlockToCTileMap_M00_N0_M01AdaptILi64ELi128ES11_iEELb1EEEvPKT0_PKT1_PT2_T3_T4_T5_T6_T7_T8_T9_
	.globl	_ZN2ck16kernel_gemm_wmmaINS_17GridwiseGemm_WmmaILi128EaaiiaLNS_25InMemoryDataOperationEnumE0ENS_16TensorDescriptorINS_5TupleIJNS_5EmbedINS4_IJiiEEENS4_IJiNS_17integral_constantIiLi1EEEEEELb0EEENS_8RightPadIiiLb0EEESC_NS_7UnMergeINS4_IJiNS7_IiLi2EEEEEELb0EEENS_11PassThroughIiEEEEENS4_IJNS_8SequenceIJLi0EEEENSK_IJLi1EEEENSK_IJLi2EEEENSK_IJLi4EEEENSK_IJLi3EEEEEEENS4_IJNSK_IJLi1ELi2EEEESP_SO_NSK_IJLi5ELi6EEEENSK_IJLi7EEEEEEENSK_IJLi5ELi7ELi6EEEElEESW_NS3_INS4_IJSA_SC_SC_EEENS4_IJSL_SM_SN_EEENS4_IJSR_SP_SO_EEENSK_IJLi3ELi4EEEElEENS_16tensor_operation12element_wise11PassThroughES14_S14_Li64ELi128ELi64ELi16ELi16ELi2ELi2ELi4ENSK_IJLi4ELi32ELi1EEEENSK_IJLi1ELi0ELi2EEEES16_Li2ELi2ELi2ELb0ELb1ELb1ES15_S16_S16_Li2ELi2ELi2ELb0ELb1ELb1ELi1ELi1ENSK_IJLi1ELi32ELi1ELi4EEEELi8ELi1ELNS_13LoopSchedulerE0ELNS_15PipelineVersionE0EEEaaaSW_SW_NS3_INS4_IJSA_SC_SC_NSD_INS4_IJiNS7_IiLi64EEEEEELb0EEENSD_INS4_IJiNS7_IiLi128EEEEEELb0EEEEEENS4_IJSL_SM_SN_SP_SO_EEENS4_IJSR_SP_SO_SS_NSK_IJLi7ELi8EEEEEEENSK_IJLi5ELi6ELi7ELi8EEEElEES14_S14_S14_NS_31BlockToCTileMap_M00_N0_M01AdaptILi64ELi128ES11_iEELb1EEEvPKT0_PKT1_PT2_T3_T4_T5_T6_T7_T8_T9_
	.p2align	8
	.type	_ZN2ck16kernel_gemm_wmmaINS_17GridwiseGemm_WmmaILi128EaaiiaLNS_25InMemoryDataOperationEnumE0ENS_16TensorDescriptorINS_5TupleIJNS_5EmbedINS4_IJiiEEENS4_IJiNS_17integral_constantIiLi1EEEEEELb0EEENS_8RightPadIiiLb0EEESC_NS_7UnMergeINS4_IJiNS7_IiLi2EEEEEELb0EEENS_11PassThroughIiEEEEENS4_IJNS_8SequenceIJLi0EEEENSK_IJLi1EEEENSK_IJLi2EEEENSK_IJLi4EEEENSK_IJLi3EEEEEEENS4_IJNSK_IJLi1ELi2EEEESP_SO_NSK_IJLi5ELi6EEEENSK_IJLi7EEEEEEENSK_IJLi5ELi7ELi6EEEElEESW_NS3_INS4_IJSA_SC_SC_EEENS4_IJSL_SM_SN_EEENS4_IJSR_SP_SO_EEENSK_IJLi3ELi4EEEElEENS_16tensor_operation12element_wise11PassThroughES14_S14_Li64ELi128ELi64ELi16ELi16ELi2ELi2ELi4ENSK_IJLi4ELi32ELi1EEEENSK_IJLi1ELi0ELi2EEEES16_Li2ELi2ELi2ELb0ELb1ELb1ES15_S16_S16_Li2ELi2ELi2ELb0ELb1ELb1ELi1ELi1ENSK_IJLi1ELi32ELi1ELi4EEEELi8ELi1ELNS_13LoopSchedulerE0ELNS_15PipelineVersionE0EEEaaaSW_SW_NS3_INS4_IJSA_SC_SC_NSD_INS4_IJiNS7_IiLi64EEEEEELb0EEENSD_INS4_IJiNS7_IiLi128EEEEEELb0EEEEEENS4_IJSL_SM_SN_SP_SO_EEENS4_IJSR_SP_SO_SS_NSK_IJLi7ELi8EEEEEEENSK_IJLi5ELi6ELi7ELi8EEEElEES14_S14_S14_NS_31BlockToCTileMap_M00_N0_M01AdaptILi64ELi128ES11_iEELb1EEEvPKT0_PKT1_PT2_T3_T4_T5_T6_T7_T8_T9_,@function
_ZN2ck16kernel_gemm_wmmaINS_17GridwiseGemm_WmmaILi128EaaiiaLNS_25InMemoryDataOperationEnumE0ENS_16TensorDescriptorINS_5TupleIJNS_5EmbedINS4_IJiiEEENS4_IJiNS_17integral_constantIiLi1EEEEEELb0EEENS_8RightPadIiiLb0EEESC_NS_7UnMergeINS4_IJiNS7_IiLi2EEEEEELb0EEENS_11PassThroughIiEEEEENS4_IJNS_8SequenceIJLi0EEEENSK_IJLi1EEEENSK_IJLi2EEEENSK_IJLi4EEEENSK_IJLi3EEEEEEENS4_IJNSK_IJLi1ELi2EEEESP_SO_NSK_IJLi5ELi6EEEENSK_IJLi7EEEEEEENSK_IJLi5ELi7ELi6EEEElEESW_NS3_INS4_IJSA_SC_SC_EEENS4_IJSL_SM_SN_EEENS4_IJSR_SP_SO_EEENSK_IJLi3ELi4EEEElEENS_16tensor_operation12element_wise11PassThroughES14_S14_Li64ELi128ELi64ELi16ELi16ELi2ELi2ELi4ENSK_IJLi4ELi32ELi1EEEENSK_IJLi1ELi0ELi2EEEES16_Li2ELi2ELi2ELb0ELb1ELb1ES15_S16_S16_Li2ELi2ELi2ELb0ELb1ELb1ELi1ELi1ENSK_IJLi1ELi32ELi1ELi4EEEELi8ELi1ELNS_13LoopSchedulerE0ELNS_15PipelineVersionE0EEEaaaSW_SW_NS3_INS4_IJSA_SC_SC_NSD_INS4_IJiNS7_IiLi64EEEEEELb0EEENSD_INS4_IJiNS7_IiLi128EEEEEELb0EEEEEENS4_IJSL_SM_SN_SP_SO_EEENS4_IJSR_SP_SO_SS_NSK_IJLi7ELi8EEEEEEENSK_IJLi5ELi6ELi7ELi8EEEElEES14_S14_S14_NS_31BlockToCTileMap_M00_N0_M01AdaptILi64ELi128ES11_iEELb1EEEvPKT0_PKT1_PT2_T3_T4_T5_T6_T7_T8_T9_: ; @_ZN2ck16kernel_gemm_wmmaINS_17GridwiseGemm_WmmaILi128EaaiiaLNS_25InMemoryDataOperationEnumE0ENS_16TensorDescriptorINS_5TupleIJNS_5EmbedINS4_IJiiEEENS4_IJiNS_17integral_constantIiLi1EEEEEELb0EEENS_8RightPadIiiLb0EEESC_NS_7UnMergeINS4_IJiNS7_IiLi2EEEEEELb0EEENS_11PassThroughIiEEEEENS4_IJNS_8SequenceIJLi0EEEENSK_IJLi1EEEENSK_IJLi2EEEENSK_IJLi4EEEENSK_IJLi3EEEEEEENS4_IJNSK_IJLi1ELi2EEEESP_SO_NSK_IJLi5ELi6EEEENSK_IJLi7EEEEEEENSK_IJLi5ELi7ELi6EEEElEESW_NS3_INS4_IJSA_SC_SC_EEENS4_IJSL_SM_SN_EEENS4_IJSR_SP_SO_EEENSK_IJLi3ELi4EEEElEENS_16tensor_operation12element_wise11PassThroughES14_S14_Li64ELi128ELi64ELi16ELi16ELi2ELi2ELi4ENSK_IJLi4ELi32ELi1EEEENSK_IJLi1ELi0ELi2EEEES16_Li2ELi2ELi2ELb0ELb1ELb1ES15_S16_S16_Li2ELi2ELi2ELb0ELb1ELb1ELi1ELi1ENSK_IJLi1ELi32ELi1ELi4EEEELi8ELi1ELNS_13LoopSchedulerE0ELNS_15PipelineVersionE0EEEaaaSW_SW_NS3_INS4_IJSA_SC_SC_NSD_INS4_IJiNS7_IiLi64EEEEEELb0EEENSD_INS4_IJiNS7_IiLi128EEEEEELb0EEEEEENS4_IJSL_SM_SN_SP_SO_EEENS4_IJSR_SP_SO_SS_NSK_IJLi7ELi8EEEEEEENSK_IJLi5ELi6ELi7ELi8EEEElEES14_S14_S14_NS_31BlockToCTileMap_M00_N0_M01AdaptILi64ELi128ES11_iEELb1EEEvPKT0_PKT1_PT2_T3_T4_T5_T6_T7_T8_T9_
; %bb.0:
	s_clause 0x1
	s_load_b96 s[4:6], s[0:1], 0xfc
	s_load_b32 s50, s[0:1], 0xa0
	s_abs_i32 s9, ttmp9
	s_clause 0x4
	s_load_b32 s21, s[0:1], 0x20
	s_load_b32 s46, s[0:1], 0x58
	;; [unrolled: 1-line block ×5, first 2 shown]
	v_dual_mov_b32 v52, 0 :: v_dual_and_b32 v69, 0xfc, v0
	s_mov_b32 s47, 0x31004000
	v_lshrrev_b32_e32 v72, 1, v0
	v_mov_b32_e32 v51, 0
	v_dual_mov_b32 v47, 0 :: v_dual_and_b32 v78, 15, v0
	v_lshrrev_b32_e32 v80, 6, v0
	s_delay_alu instid0(VALU_DEP_4) | instskip(SKIP_1) | instid1(VALU_DEP_4)
	v_dual_mov_b32 v59, 0 :: v_dual_and_b32 v70, 0x7e, v72
	v_lshlrev_b32_e32 v76, 1, v69
	v_lshlrev_b32_e32 v73, 1, v78
	v_mov_b32_e32 v61, 0
	v_bfe_u32 v71, v0, 4, 1
	v_mov_b32_e32 v13, 0
	v_mov_b32_e32 v15, 0
	s_wait_kmcnt 0x0
	s_add_co_i32 s2, s4, 63
	s_add_co_i32 s3, s5, 0x7f
	s_ashr_i32 s4, s2, 31
	s_ashr_i32 s5, s3, 31
	s_lshr_b32 s4, s4, 26
	s_lshr_b32 s5, s5, 25
	s_add_co_i32 s2, s2, s4
	s_add_co_i32 s3, s3, s5
	s_ashr_i32 s4, s2, 6
	s_ashr_i32 s5, s3, 7
	v_lshl_or_b32 v74, v80, 5, v73
	s_mul_i32 s3, s5, s4
	v_and_or_b32 v73, v0, 32, v73
	s_abs_i32 s3, s3
	v_dual_mov_b32 v25, 0 :: v_dual_mov_b32 v42, 0
	s_cvt_f32_u32 s7, s3
	s_sub_co_i32 s8, 0, s3
	v_mad_u32_u24 v82, 0x82, v71, v74
	v_mad_u32_u24 v74, 0x102, v71, v73
	v_rcp_iflag_f32_e32 v1, s7
	v_dual_mov_b32 v27, 0 :: v_dual_mov_b32 v44, 0
	v_dual_mov_b32 v29, 0 :: v_dual_mov_b32 v46, 0
	;; [unrolled: 1-line block ×5, first 2 shown]
	s_delay_alu instid0(TRANS32_DEP_1)
	v_readfirstlane_b32 s7, v1
	v_dual_mov_b32 v45, 0 :: v_dual_mov_b32 v62, 0
	v_dual_mov_b32 v57, 0 :: v_dual_mov_b32 v64, 0
	s_mul_f32 s7, s7, 0x4f7ffffe
	s_mov_b32 s55, 0
	s_mov_b32 s51, s47
	v_mov_b32_e32 v50, 0
	s_wait_alu 0xfffe
	s_cvt_u32_f32 s7, s7
	v_dual_mov_b32 v49, 0 :: v_dual_mov_b32 v54, 0
	v_mov_b32_e32 v56, 0
	s_wait_alu 0xfffe
	s_mul_i32 s8, s8, s7
	v_mov_b32_e32 v53, 0
	s_mul_hi_u32 s8, s7, s8
	v_mov_b32_e32 v34, 0
	s_add_co_i32 s7, s7, s8
	s_ashr_i32 s8, ttmp9, 31
	s_wait_alu 0xfffe
	s_mul_hi_u32 s7, s9, s7
	v_mov_b32_e32 v55, 0
	s_wait_alu 0xfffe
	s_mul_i32 s7, s7, s3
	v_mov_b32_e32 v36, 0
	s_wait_alu 0xfffe
	s_sub_co_i32 s7, s9, s7
	v_mov_b32_e32 v38, 0
	s_wait_alu 0xfffe
	s_sub_co_i32 s9, s7, s3
	s_cmp_ge_u32 s7, s3
	v_mov_b32_e32 v33, 0
	s_cselect_b32 s7, s9, s7
	v_mov_b32_e32 v18, 0
	s_wait_alu 0xfffe
	s_sub_co_i32 s9, s7, s3
	s_cmp_ge_u32 s7, s3
	v_mov_b32_e32 v35, 0
	s_cselect_b32 s3, s9, s7
	s_abs_i32 s7, s5
	s_xor_b32 s3, s3, s8
	s_wait_alu 0xfffe
	s_cvt_f32_u32 s9, s7
	s_sub_co_i32 s10, 0, s7
	s_sub_co_i32 s8, s3, s8
	v_mov_b32_e32 v40, 0
	v_rcp_iflag_f32_e32 v1, s9
	v_dual_mov_b32 v23, 0 :: v_dual_mov_b32 v24, 0
	v_mov_b32_e32 v37, 0
	v_mov_b32_e32 v39, 0
	v_dual_mov_b32 v19, 0 :: v_dual_mov_b32 v20, 0
	v_dual_mov_b32 v21, 0 :: v_dual_mov_b32 v22, 0
	v_mov_b32_e32 v10, 0
	s_delay_alu instid0(TRANS32_DEP_1)
	v_readfirstlane_b32 s9, v1
	v_dual_mov_b32 v17, 0 :: v_dual_mov_b32 v12, 0
	v_mov_b32_e32 v9, 0
	v_mov_b32_e32 v11, 0
	s_mul_f32 s9, s9, 0x4f7ffffe
	v_mov_b32_e32 v14, 0
	v_mov_b32_e32 v16, 0
	;; [unrolled: 1-line block ×3, first 2 shown]
	s_wait_alu 0xfffe
	s_cvt_u32_f32 s9, s9
	v_mov_b32_e32 v30, 0
	v_mov_b32_e32 v32, 0
	;; [unrolled: 1-line block ×3, first 2 shown]
	s_wait_alu 0xfffe
	s_mul_i32 s10, s10, s9
	s_delay_alu instid0(SALU_CYCLE_1)
	s_mul_hi_u32 s3, s9, s10
	s_abs_i32 s10, s8
	s_add_co_i32 s9, s9, s3
	s_wait_alu 0xfffe
	s_mul_hi_u32 s3, s10, s9
	s_xor_b32 s9, s8, s5
	s_mul_i32 s11, s3, s7
	s_wait_alu 0xfffe
	s_ashr_i32 s9, s9, 31
	s_sub_co_i32 s10, s10, s11
	s_add_co_i32 s11, s3, 1
	s_sub_co_i32 s12, s10, s7
	s_cmp_ge_u32 s10, s7
	s_cselect_b32 s3, s11, s3
	s_cselect_b32 s10, s12, s10
	s_add_co_i32 s11, s3, 1
	s_cmp_ge_u32 s10, s7
	s_cselect_b32 s3, s11, s3
	s_abs_i32 s7, s6
	s_abs_i32 s12, s4
	s_wait_alu 0xfffe
	s_cvt_f32_u32 s10, s7
	s_sub_co_i32 s11, 0, s7
	s_ashr_i32 s13, s2, 31
	s_xor_b32 s2, s3, s9
	v_rcp_iflag_f32_e32 v1, s10
	s_sub_co_i32 s2, s2, s9
	s_delay_alu instid0(TRANS32_DEP_1) | instskip(SKIP_2) | instid1(SALU_CYCLE_2)
	v_readfirstlane_b32 s10, v1
	s_mul_f32 s10, s10, 0x4f7ffffe
	s_wait_alu 0xfffe
	s_cvt_u32_f32 s10, s10
	s_wait_alu 0xfffe
	s_delay_alu instid0(SALU_CYCLE_2)
	s_mul_i32 s11, s11, s10
	s_wait_alu 0xfffe
	s_mul_hi_u32 s11, s10, s11
	s_wait_alu 0xfffe
	s_add_co_i32 s10, s10, s11
	s_wait_alu 0xfffe
	s_mul_hi_u32 s11, s12, s10
	s_wait_alu 0xfffe
	s_mul_i32 s11, s11, s7
	s_wait_alu 0xfffe
	s_sub_co_i32 s3, s12, s11
	s_delay_alu instid0(SALU_CYCLE_1) | instskip(SKIP_3) | instid1(SALU_CYCLE_1)
	s_sub_co_i32 s9, s3, s7
	s_cmp_ge_u32 s3, s7
	s_wait_alu 0xfffe
	s_cselect_b32 s3, s9, s3
	s_sub_co_i32 s9, s3, s7
	s_cmp_ge_u32 s3, s7
	s_wait_alu 0xfffe
	s_cselect_b32 s3, s9, s3
	s_mul_i32 s9, s2, s5
	s_xor_b32 s3, s3, s13
	s_delay_alu instid0(SALU_CYCLE_1) | instskip(NEXT) | instid1(SALU_CYCLE_1)
	s_sub_co_i32 s3, s3, s13
	s_sub_co_i32 s4, s4, s3
	s_delay_alu instid0(SALU_CYCLE_1)
	s_cmp_lt_i32 s2, s4
	s_cselect_b32 s3, s6, s3
	s_abs_i32 s4, s2
	s_wait_alu 0xfffe
	s_sub_co_i32 s8, s8, s9
	s_mul_hi_u32 s6, s4, s10
	s_wait_alu 0xfffe
	s_mul_i32 s6, s6, s7
	s_wait_alu 0xfffe
	s_sub_co_i32 s4, s4, s6
	s_ashr_i32 s6, s2, 31
	s_sub_co_i32 s9, s4, s7
	s_cmp_ge_u32 s4, s7
	s_wait_alu 0xfffe
	s_cselect_b32 s4, s9, s4
	s_delay_alu instid0(SALU_CYCLE_1)
	s_sub_co_i32 s9, s4, s7
	s_cmp_ge_u32 s4, s7
	s_wait_alu 0xfffe
	s_cselect_b32 s4, s9, s4
	s_abs_i32 s7, s3
	s_xor_b32 s4, s4, s6
	s_wait_alu 0xfffe
	s_cvt_f32_u32 s9, s7
	s_sub_co_i32 s12, s4, s6
	s_sub_co_i32 s4, 0, s7
	s_mul_i32 s5, s12, s5
	s_wait_alu 0xfffe
	v_rcp_iflag_f32_e32 v1, s9
	s_add_co_i32 s5, s5, s8
	s_delay_alu instid0(SALU_CYCLE_1) | instskip(SKIP_1) | instid1(SALU_CYCLE_1)
	s_abs_i32 s6, s5
	s_xor_b32 s13, s5, s3
	s_ashr_i32 s13, s13, 31
	s_delay_alu instid0(TRANS32_DEP_1) | instskip(SKIP_2) | instid1(VALU_DEP_1)
	v_readfirstlane_b32 s9, v1
	v_lshlrev_b32_e32 v1, 3, v0
	s_mul_f32 s9, s9, 0x4f7ffffe
	v_and_b32_e32 v66, 24, v1
	s_wait_alu 0xfffe
	s_delay_alu instid0(SALU_CYCLE_1) | instskip(NEXT) | instid1(VALU_DEP_1)
	s_cvt_u32_f32 s9, s9
	v_lshlrev_b32_e32 v67, 1, v66
	v_lshlrev_b32_e32 v79, 7, v66
	s_wait_alu 0xfffe
	s_mul_i32 s4, s4, s9
	s_delay_alu instid0(SALU_CYCLE_1)
	s_mul_hi_u32 s4, s9, s4
	v_or_b32_e32 v130, 2, v67
	s_add_co_i32 s4, s9, s4
	s_clause 0x1
	s_load_b128 s[8:11], s[0:1], 0x0
	s_load_b64 s[40:41], s[0:1], 0x10
	s_mul_hi_u32 s4, s6, s4
	s_clause 0x3
	s_load_b32 s38, s[0:1], 0xb0
	s_load_b32 s37, s[0:1], 0xbc
	;; [unrolled: 1-line block ×3, first 2 shown]
	s_load_b64 s[42:43], s[0:1], 0xf0
	s_mul_i32 s14, s4, s7
	v_mad_u32_u24 v79, 0x82, v66, v79
	s_sub_co_i32 s6, s6, s14
	s_add_co_i32 s14, s4, 1
	s_wait_alu 0xfffe
	s_sub_co_i32 s15, s6, s7
	s_cmp_ge_u32 s6, s7
	v_or_b32_e32 v131, 4, v67
	s_cselect_b32 s4, s14, s4
	s_cselect_b32 s6, s15, s6
	s_add_co_i32 s14, s4, 1
	s_wait_alu 0xfffe
	s_cmp_ge_u32 s6, s7
	s_mov_b32 s7, s47
	s_cselect_b32 s4, s14, s4
	s_wait_kmcnt 0x0
	s_sub_co_i32 s43, s2, s12
	s_xor_b32 s4, s4, s13
	s_mov_b32 s6, s50
	s_sub_co_i32 s52, s4, s13
	s_and_b32 s49, s11, 0xffff
	v_lshl_add_u32 v75, s52, 7, v69
	s_mul_i32 s2, s52, s3
	s_mov_b32 s4, s10
	s_sub_co_i32 s2, s5, s2
	s_mov_b32 s5, s49
	v_mul_lo_u32 v65, v75, s22
	s_add_co_i32 s43, s43, s2
	s_and_b32 s45, s9, 0xffff
	v_lshl_add_u32 v77, s43, 6, v70
	s_mov_b32 s3, s47
	s_mov_b32 s2, s46
	v_mul_u32_u24_e32 v69, 0x82, v66
	v_lshlrev_b32_e32 v70, 1, v70
	v_add_nc_u32_e32 v1, v65, v67
	v_mul_lo_u32 v68, v77, s21
	v_or_b32_e32 v132, 6, v67
	v_mov_b32_e32 v63, 0
	v_add_nc_u32_e32 v69, v69, v70
	s_clause 0x3
	buffer_load_u16 v84, v1, s[4:7], null offen offset:2
	buffer_load_u16 v85, v1, s[4:7], null offen offset:4
	;; [unrolled: 1-line block ×4, first 2 shown]
	s_clause 0x2
	s_load_b32 s24, s[0:1], 0x2c
	s_load_b32 s54, s[0:1], 0x38
	;; [unrolled: 1-line block ×3, first 2 shown]
	s_clause 0x1
	buffer_load_u16 v86, v1, s[4:7], null offen offset:10
	buffer_load_u16 v87, v1, s[4:7], null offen offset:12
	v_add_nc_u32_e32 v2, s22, v1
	s_clause 0x2
	buffer_load_u16 v88, v1, s[4:7], null offen offset:14
	buffer_load_u16 v129, v1, s[4:7], null offen
	buffer_load_u16 v128, v2, s[4:7], null offen
	v_add_nc_u32_e32 v1, v68, v67
	v_add_nc_u32_e32 v3, s22, v2
	v_add_nc_u32_e32 v4, 2, v2
	v_add_nc_u32_e32 v5, 4, v2
	s_mov_b32 s0, s8
	s_mov_b32 s1, s45
	s_clause 0x7
	buffer_load_u16 v127, v1, s[0:3], null offen
	buffer_load_u16 v126, v1, s[0:3], null offen offset:4
	buffer_load_u16 v125, v1, s[0:3], null offen offset:10
	;; [unrolled: 1-line block ×7, first 2 shown]
	s_clause 0x2
	buffer_load_u16 v121, v3, s[4:7], null offen
	buffer_load_u16 v120, v4, s[4:7], null offen
	;; [unrolled: 1-line block ×3, first 2 shown]
	v_add_nc_u32_e32 v6, 6, v2
	v_add_nc_u32_e32 v4, 8, v2
	;; [unrolled: 1-line block ×4, first 2 shown]
	v_mad_u32_u24 v135, 0x82, v66, v70
	s_clause 0x1
	buffer_load_u16 v118, v6, s[4:7], null offen
	buffer_load_u16 v117, v4, s[4:7], null offen
	v_add_nc_u32_e32 v6, 12, v2
	v_add_nc_u32_e32 v2, 14, v2
	s_clause 0x8
	buffer_load_u16 v116, v5, s[4:7], null offen
	buffer_load_u16 v115, v6, s[4:7], null offen
	buffer_load_u16 v114, v2, s[4:7], null offen
	buffer_load_u16 v112, v3, s[4:7], null offen offset:6
	buffer_load_u16 v110, v3, s[4:7], null offen offset:8
	buffer_load_u16 v108, v3, s[4:7], null offen offset:10
	buffer_load_u16 v106, v3, s[4:7], null offen offset:12
	buffer_load_u16 v107, v3, s[4:7], null offen offset:14
	buffer_load_u16 v105, v3, s[4:7], null offen offset:2
	buffer_load_u16 v104, v1, s[0:3], null offen
	buffer_load_u16 v109, v3, s[4:7], null offen offset:4
	v_add_nc_u32_e32 v5, 4, v1
	v_add_nc_u32_e32 v2, s22, v3
	v_add_nc_u32_e32 v3, 12, v1
	v_add_nc_u32_e32 v4, 10, v1
	v_add_nc_u32_e32 v6, 8, v1
	v_add_nc_u32_e32 v7, 6, v1
	v_add_nc_u32_e32 v8, 2, v1
	v_add_nc_u32_e32 v1, 14, v1
	s_clause 0x6
	buffer_load_u16 v103, v5, s[0:3], null offen
	buffer_load_u16 v97, v3, s[0:3], null offen
	;; [unrolled: 1-line block ×7, first 2 shown]
	v_add_nc_u32_e32 v1, 6, v2
	v_add_nc_u32_e32 v3, 14, v2
	v_add_nc_u32_e32 v4, 12, v2
	v_add_nc_u32_e32 v6, 4, v2
	v_add_nc_u32_e32 v7, 2, v2
	buffer_load_u16 v100, v1, s[4:7], null offen
	v_add_nc_u32_e32 v5, 8, v2
	v_add_nc_u32_e32 v1, 10, v2
	s_clause 0x6
	buffer_load_u16 v98, v3, s[4:7], null offen
	buffer_load_u16 v95, v4, s[4:7], null offen
	;; [unrolled: 1-line block ×7, first 2 shown]
	s_wait_kmcnt 0x0
	s_ashr_i32 s0, s25, 31
	s_mov_b32 s44, s8
	s_lshr_b32 s0, s0, 27
	v_cmp_gt_i32_e64 s8, s53, v130
	s_add_co_i32 s25, s25, s0
	v_add_nc_u32_e32 v70, v79, v76
	v_or_b32_e32 v76, 1, v75
	v_or_b32_e32 v79, 2, v75
	v_cmp_gt_i32_e32 vcc_lo, s23, v75
	v_or_b32_e32 v71, 8, v67
	s_ashr_i32 s0, s25, 5
	s_mov_b32 s48, s10
	v_cmp_gt_i32_e64 s10, s53, v131
	v_or_b32_e32 v73, 10, v67
	s_max_i32 s0, s0, 2
	v_cmp_gt_i32_e64 s12, s53, v132
	v_or_b32_e32 v133, 12, v67
	s_add_co_i32 s56, s0, -1
	v_cmp_gt_i32_e64 s0, s23, v76
	v_cmp_gt_i32_e64 s1, s23, v79
	v_mul_lo_u32 v76, s22, v79
	v_add_nc_u32_e32 v79, s21, v68
	s_and_b32 s21, s8, vcc_lo
	v_cmp_gt_i32_e64 s17, s53, v71
	v_or_b32_e32 v134, 14, v67
	v_cmp_gt_i32_e64 s18, s53, v73
	v_cmp_gt_i32_e64 s19, s53, v133
	;; [unrolled: 1-line block ×11, first 2 shown]
	v_or_b32_e32 v132, 1, v77
	v_cmp_gt_i32_e64 s7, s54, v130
	v_cmp_gt_i32_e64 s13, s54, v71
	v_or_b32_e32 v131, 3, v75
	v_add_nc_u32_e32 v71, 64, v70
	v_cmp_gt_i32_e64 s4, s24, v132
	v_dual_mov_b32 v1, 0 :: v_dual_mov_b32 v2, 0
	s_delay_alu instid0(VALU_DEP_4)
	v_cmp_gt_i32_e64 s2, s23, v131
	v_mul_lo_u32 v75, s22, v131
	v_dual_mov_b32 v3, 0 :: v_dual_mov_b32 v4, 0
	v_dual_mov_b32 v5, 0 :: v_dual_mov_b32 v6, 0
	;; [unrolled: 1-line block ×3, first 2 shown]
	v_add_nc_u32_e32 v73, 0x174c, v70
	v_add_nc_u32_e32 v77, s22, v65
	;; [unrolled: 1-line block ×3, first 2 shown]
	s_wait_loadcnt 0x2f
	s_wait_alu 0xfffe
	v_cndmask_b32_e64 v84, 0, v84, s21
	s_and_b32 s21, s10, vcc_lo
	s_wait_loadcnt 0x2e
	s_wait_alu 0xfffe
	v_cndmask_b32_e64 v85, 0, v85, s21
	s_and_b32 s21, s12, vcc_lo
	v_lshrrev_b16 v131, 8, v84
	s_wait_loadcnt 0x2d
	s_wait_alu 0xfffe
	v_cndmask_b32_e64 v83, 0, v83, s21
	s_and_b32 s21, s17, vcc_lo
	v_lshrrev_b16 v132, 8, v85
	;; [unrolled: 5-line block ×6, first 2 shown]
	s_wait_loadcnt 0x28
	s_wait_alu 0xfffe
	v_cndmask_b32_e64 v129, 0, v129, s21
	s_and_b32 s21, s6, s0
	v_lshrrev_b16 v138, 8, v88
	s_wait_loadcnt 0x27
	s_wait_alu 0xfffe
	v_cndmask_b32_e64 v128, 0, v128, s21
	s_and_b32 s21, s5, s3
	s_and_b32 s5, s5, s4
	s_wait_loadcnt 0x26
	s_wait_alu 0xfffe
	v_cndmask_b32_e64 v127, 0, v127, s21
	s_and_b32 s21, s9, s3
	s_wait_loadcnt 0x25
	s_wait_alu 0xfffe
	v_cndmask_b32_e64 v126, 0, v126, s21
	s_and_b32 s21, s14, s3
	s_wait_loadcnt 0x10
	v_cndmask_b32_e64 v104, 0, v104, s5
	s_wait_alu 0xfffe
	v_cndmask_b32_e64 v125, 0, v125, s21
	s_and_b32 s21, s15, s3
	s_and_b32 s5, s10, s1
	s_wait_alu 0xfffe
	v_cndmask_b32_e64 v124, 0, v124, s21
	s_and_b32 s21, s16, s3
	s_wait_loadcnt 0xf
	v_cndmask_b32_e64 v109, 0, v109, s5
	s_wait_alu 0xfffe
	v_cndmask_b32_e64 v122, 0, v122, s21
	s_and_b32 s21, s7, s3
	s_and_b32 s5, s9, s4
	;; [unrolled: 9-line block ×4, first 2 shown]
	s_wait_alu 0xfffe
	v_cndmask_b32_e64 v120, 0, v120, s21
	s_and_b32 s21, s10, s0
	v_cndmask_b32_e64 v97, 0, v97, s5
	s_wait_alu 0xfffe
	v_cndmask_b32_e64 v119, 0, v119, s21
	s_and_b32 s21, s12, s0
	s_and_b32 s5, s16, s4
	s_wait_alu 0xfffe
	v_cndmask_b32_e64 v118, 0, v118, s21
	s_and_b32 s21, s17, s0
	s_wait_loadcnt 0x8
	v_cndmask_b32_e64 v101, 0, v101, s5
	s_wait_alu 0xfffe
	v_cndmask_b32_e64 v117, 0, v117, s21
	s_and_b32 s21, s18, s0
	s_and_b32 s5, s13, s4
	s_wait_alu 0xfffe
	v_cndmask_b32_e64 v116, 0, v116, s21
	s_and_b32 s21, s19, s0
	v_cndmask_b32_e64 v92, 0, v92, s5
	s_and_b32 s5, s7, s4
	s_wait_alu 0xfffe
	v_cndmask_b32_e64 v115, 0, v115, s21
	s_and_b32 s21, s20, s0
	v_cndmask_b32_e64 v93, 0, v93, s5
	;; [unrolled: 5-line block ×3, first 2 shown]
	s_and_b32 s5, s12, s2
	s_wait_alu 0xfffe
	v_cndmask_b32_e64 v112, 0, v112, s21
	s_and_b32 s21, s17, s1
	s_wait_loadcnt 0x7
	v_cndmask_b32_e64 v100, 0, v100, s5
	s_and_b32 s5, s20, s2
	s_wait_alu 0xfffe
	v_cndmask_b32_e64 v110, 0, v110, s21
	s_and_b32 s21, s18, s1
	s_wait_loadcnt 0x6
	v_cndmask_b32_e64 v98, 0, v98, s5
	s_and_b32 s5, s19, s2
	v_perm_b32 v84, v120, v84, 0x5040100
	v_lshrrev_b16 v120, 8, v120
	s_wait_alu 0xfffe
	v_cndmask_b32_e64 v108, 0, v108, s21
	s_and_b32 s21, s19, s1
	s_wait_loadcnt 0x5
	v_cndmask_b32_e64 v95, 0, v95, s5
	s_and_b32 s5, s17, s2
	s_wait_alu 0xfffe
	v_cndmask_b32_e64 v106, 0, v106, s21
	s_and_b32 s21, s20, s1
	s_wait_loadcnt 0x2
	v_cndmask_b32_e64 v99, 0, v99, s5
	s_and_b32 s5, s18, s2
	s_wait_alu 0xfffe
	v_cndmask_b32_e64 v107, 0, v107, s21
	v_perm_b32 v85, v119, v85, 0x5040100
	v_lshrrev_b16 v119, 8, v119
	v_perm_b32 v83, v118, v83, 0x5040100
	v_lshrrev_b16 v118, 8, v118
	;; [unrolled: 2-line block ×5, first 2 shown]
	v_perm_b32 v120, v120, v131, 0x5040100
	s_wait_loadcnt 0x1
	v_cndmask_b32_e64 v96, 0, v96, s5
	v_lshrrev_b16 v139, 8, v125
	v_lshl_or_b32 v121, v121, 16, v128
	v_lshrrev_b16 v128, 8, v124
	v_lshl_or_b32 v104, v104, 16, v127
	v_lshrrev_b16 v127, 8, v122
	v_perm_b32 v87, v115, v87, 0x5040100
	v_lshrrev_b16 v115, 8, v115
	v_lshrrev_b16 v131, 8, v112
	v_perm_b32 v119, v119, v132, 0x5040100
	v_lshrrev_b16 v132, 8, v110
	v_perm_b32 v118, v118, v133, 0x5040100
	v_lshrrev_b16 v133, 8, v108
	v_perm_b32 v117, v117, v134, 0x5040100
	v_lshrrev_b16 v134, 8, v106
	v_perm_b32 v116, v116, v136, 0x5040100
	v_lshrrev_b16 v136, 8, v107
	v_perm_b32 v114, v114, v138, 0x5040100
	v_perm_b32 v125, v102, v125, 0x5040100
	v_lshrrev_b16 v102, 8, v102
	v_perm_b32 v124, v97, v124, 0x5040100
	v_lshrrev_b16 v97, 8, v97
	;; [unrolled: 2-line block ×3, first 2 shown]
	v_pk_lshlrev_b16 v120, 8, v120 op_sel_hi:[0,1]
	v_perm_b32 v112, v100, v112, 0x5040100
	v_lshrrev_b16 v100, 8, v100
	v_perm_b32 v107, v98, v107, 0x5040100
	v_lshrrev_b16 v98, 8, v98
	;; [unrolled: 2-line block ×5, first 2 shown]
	v_perm_b32 v115, v115, v137, 0x5040100
	v_lshl_or_b32 v103, v103, 16, v126
	v_pk_lshlrev_b16 v119, 8, v119 op_sel_hi:[0,1]
	v_pk_lshlrev_b16 v118, 8, v118 op_sel_hi:[0,1]
	;; [unrolled: 1-line block ×5, first 2 shown]
	v_perm_b32 v102, v102, v139, 0x5040100
	v_perm_b32 v97, v97, v128, 0x5040100
	;; [unrolled: 1-line block ×3, first 2 shown]
	v_and_or_b32 v84, 0xff00ff, v84, v120
	v_perm_b32 v100, v100, v131, 0x5040100
	v_perm_b32 v99, v99, v132, 0x5040100
	;; [unrolled: 1-line block ×5, first 2 shown]
	s_and_b32 s5, s6, s2
	v_pk_lshlrev_b16 v115, 8, v115 op_sel_hi:[0,1]
	ds_store_2addr_b32 v135, v104, v103 offset1:65
	v_and_or_b32 v103, 0xff00ff, v85, v119
	v_and_or_b32 v104, 0xff00ff, v83, v118
	;; [unrolled: 1-line block ×5, first 2 shown]
	v_pk_lshlrev_b16 v81, 8, v102 op_sel_hi:[0,1]
	v_pk_lshlrev_b16 v86, 8, v97 op_sel_hi:[0,1]
	;; [unrolled: 1-line block ×3, first 2 shown]
	ds_store_2addr_stride64_b32 v71, v121, v84 offset0:16 offset1:17
	v_pk_lshlrev_b16 v84, 8, v100 op_sel_hi:[0,1]
	v_pk_lshlrev_b16 v97, 8, v99 op_sel_hi:[0,1]
	;; [unrolled: 1-line block ×5, first 2 shown]
	s_wait_loadcnt 0x0
	s_wait_alu 0xfffe
	v_cndmask_b32_e64 v94, 0, v94, s5
	s_and_b32 s5, s8, s2
	s_and_b32 s21, s8, s1
	s_wait_alu 0xfffe
	v_cndmask_b32_e64 v90, 0, v90, s5
	s_and_b32 s5, s10, s2
	v_cndmask_b32_e64 v105, 0, v105, s21
	s_wait_alu 0xfffe
	v_cndmask_b32_e64 v89, 0, v89, s5
	v_and_or_b32 v87, 0xff00ff, v87, v115
	v_and_or_b32 v81, 0xff00ff, v125, v81
	;; [unrolled: 1-line block ×9, first 2 shown]
	ds_store_b16 v135, v93 offset:132
	ds_store_b16 v135, v123 offset:130
	;; [unrolled: 1-line block ×6, first 2 shown]
	ds_store_b32 v135, v81 offset:650
	ds_store_b32 v135, v99 offset:780
	ds_store_b32 v135, v100 offset:910
	ds_store_b16 v70, v129 offset:4158
	ds_store_b16 v70, v94 offset:4164
	;; [unrolled: 1-line block ×4, first 2 shown]
	ds_store_b32 v70, v103 offset:4674
	ds_store_b16 v70, v109 offset:4678
	ds_store_b16 v70, v89 offset:4680
	ds_store_b64 v70, v[83:84] offset:5190
	ds_store_b64 v70, v[85:86] offset:5448
	ds_store_2addr_b32 v130, v104, v101 offset1:1
	ds_store_b64 v70, v[87:88] offset:5706
	ds_store_2addr_b32 v73, v114, v95 offset1:1
.LBB1_1:                                ; =>This Inner Loop Header: Depth=1
	v_add_nc_u32_e32 v83, v67, v68
	v_add_nc_u32_e32 v85, v67, v79
	;; [unrolled: 1-line block ×5, first 2 shown]
	s_clause 0xf
	buffer_load_u16 v111, v83, s[44:47], null offen offset:64
	buffer_load_u16 v81, v83, s[44:47], null offen offset:66
	;; [unrolled: 1-line block ×16, first 2 shown]
	s_wait_dscnt 0x0
	s_barrier_signal -1
	s_barrier_wait -1
	ds_load_u16_d16 v87, v74 offset:5318
	ds_load_u16 v88, v74 offset:5834
	ds_load_u16 v89, v82 offset:780
	ds_load_u16_d16 v90, v82 offset:520
	ds_load_u16_d16 v91, v74 offset:5190
	ds_load_u16 v92, v74 offset:5706
	ds_load_u16 v93, v74 offset:5770
	ds_load_u16_d16 v94, v74 offset:5254
	ds_load_u16 v95, v74 offset:5898
	ds_load_u16_d16 v96, v74 offset:5382
	;; [unrolled: 2-line block ×3, first 2 shown]
	ds_load_u16 v98, v82 offset:844
	v_add_nc_u32_e32 v117, 0x44, v100
	v_add_nc_u32_e32 v125, 64, v100
	;; [unrolled: 1-line block ×5, first 2 shown]
	v_cmp_gt_i32_e64 s5, s54, v117
	v_cmp_gt_i32_e64 s12, s53, v125
	v_cmp_gt_i32_e64 s7, s53, v117
	s_wait_dscnt 0xb
	v_perm_b32 v87, v87, v88, 0x1000504
	ds_load_u16 v88, v82
	s_wait_dscnt 0xa
	v_perm_b32 v89, v90, v89, 0x1000504
	ds_load_u16 v90, v74 offset:4158
	s_wait_dscnt 0x9
	v_perm_b32 v91, v91, v92, 0x1000504
	ds_load_u16 v92, v74 offset:4222
	;; [unrolled: 3-line block ×3, first 2 shown]
	ds_load_u16_d16 v99, v82 offset:1560
	s_wait_dscnt 0x8
	v_perm_b32 v95, v96, v95, 0x1000504
	s_and_b32 s6, s3, s5
	s_and_b32 s5, s4, s5
	s_wait_dscnt 0x5
	v_perm_b32 v97, v97, v98, 0x1000504
	v_add_nc_u32_e32 v117, 0x46, v100
	s_and_b32 s19, s0, s12
	s_and_b32 s36, s1, s7
	;; [unrolled: 1-line block ×4, first 2 shown]
	v_cmp_gt_i32_e64 s18, s54, v117
	v_cmp_gt_i32_e64 s11, s53, v117
	s_and_b32 s27, vcc_lo, s7
	s_and_b32 s7, s2, s7
	ds_load_u16 v96, v82 offset:64
	s_wait_dscnt 0x5
	ds_load_u16_d16_hi v88, v82 offset:260
	s_wait_dscnt 0x5
	ds_load_u16_d16_hi v90, v74 offset:4674
	ds_load_u16_d16_hi v86, v74 offset:4802
	s_wait_dscnt 0x6
	ds_load_u16_d16_hi v92, v74 offset:4738
	s_wait_dscnt 0x6
	ds_load_u16_d16_hi v94, v74 offset:4866
	s_and_b32 s34, s1, s11
	s_and_b32 s28, s0, s11
	s_and_b32 s29, vcc_lo, s11
	s_and_b32 s11, s2, s11
	v_add_nc_u32_e32 v75, 64, v75
	v_add_nc_u32_e32 v68, 64, v68
	;; [unrolled: 1-line block ×3, first 2 shown]
	s_add_co_i32 s56, s56, -1
	s_add_co_i32 s55, s55, 64
	s_wait_dscnt 0x3
	v_wmma_i32_16x16x16_iu8 v[49:56], v[88:89], v[90:91], v[49:56] neg_lo:[1,1,0]
	s_wait_dscnt 0x2
	v_wmma_i32_16x16x16_iu8 v[17:24], v[88:89], v[86:87], v[17:24] neg_lo:[1,1,0]
	;; [unrolled: 2-line block ×4, first 2 shown]
	ds_load_u16 v88, v82 offset:1820
	ds_load_u16 v98, v74 offset:7962
	ds_load_u16_d16_hi v96, v82 offset:324
	s_wait_dscnt 0x0
	v_wmma_i32_16x16x16_iu8 v[1:8], v[96:97], v[90:91], v[1:8] neg_lo:[1,1,0]
	ds_load_u16_d16 v89, v74 offset:7254
	ds_load_u16 v90, v74 offset:7770
	v_wmma_i32_16x16x16_iu8 v[25:32], v[96:97], v[92:93], v[25:32] neg_lo:[1,1,0]
	ds_load_u16_d16 v91, v74 offset:7318
	ds_load_u16 v92, v74 offset:7834
	v_wmma_i32_16x16x16_iu8 v[41:48], v[96:97], v[86:87], v[41:48] neg_lo:[1,1,0]
	ds_load_u16 v93, v74 offset:7898
	ds_load_u16_d16 v115, v74 offset:7382
	v_wmma_i32_16x16x16_iu8 v[57:64], v[96:97], v[94:95], v[57:64] neg_lo:[1,1,0]
	ds_load_u16_d16 v94, v74 offset:7446
	ds_load_u16_d16 v96, v82 offset:1624
	ds_load_u16 v97, v82 offset:1884
	v_perm_b32 v87, v99, v88, 0x1000504
	ds_load_u16 v86, v82 offset:1040
	ds_load_u16 v88, v74 offset:6222
	s_wait_dscnt 0x9
	v_perm_b32 v89, v89, v90, 0x1000504
	ds_load_u16 v90, v74 offset:6286
	s_wait_dscnt 0x8
	v_perm_b32 v91, v91, v92, 0x1000504
	;; [unrolled: 3-line block ×3, first 2 shown]
	ds_load_u16 v94, v74 offset:6414
	ds_load_u16 v98, v82 offset:2860
	s_wait_dscnt 0x6
	v_perm_b32 v97, v96, v97, 0x1000504
	v_perm_b32 v93, v115, v93, 0x1000504
	ds_load_u16 v96, v82 offset:1104
	s_wait_dscnt 0x6
	ds_load_u16_d16_hi v86, v82 offset:1300
	s_wait_dscnt 0x6
	ds_load_u16_d16_hi v88, v74 offset:6738
	;; [unrolled: 2-line block ×5, first 2 shown]
	s_wait_dscnt 0x3
	v_wmma_i32_16x16x16_iu8 v[49:56], v[86:87], v[88:89], v[49:56] neg_lo:[1,1,0]
	s_wait_dscnt 0x2
	v_wmma_i32_16x16x16_iu8 v[33:40], v[86:87], v[90:91], v[33:40] neg_lo:[1,1,0]
	;; [unrolled: 2-line block ×4, first 2 shown]
	ds_load_u16_d16 v87, v82 offset:2600
	ds_load_u16 v99, v74 offset:10026
	ds_load_u16_d16_hi v96, v82 offset:1364
	s_wait_dscnt 0x2
	v_perm_b32 v87, v87, v98, 0x1000504
	s_wait_dscnt 0x0
	v_wmma_i32_16x16x16_iu8 v[1:8], v[96:97], v[88:89], v[1:8] neg_lo:[1,1,0]
	ds_load_u16_d16 v88, v74 offset:9318
	ds_load_u16 v89, v74 offset:9834
	v_wmma_i32_16x16x16_iu8 v[25:32], v[96:97], v[90:91], v[25:32] neg_lo:[1,1,0]
	ds_load_u16_d16 v90, v74 offset:9382
	ds_load_u16 v91, v74 offset:9898
	v_wmma_i32_16x16x16_iu8 v[41:48], v[96:97], v[92:93], v[41:48] neg_lo:[1,1,0]
	ds_load_u16 v92, v74 offset:9962
	ds_load_u16_d16 v93, v74 offset:9446
	v_wmma_i32_16x16x16_iu8 v[57:64], v[96:97], v[94:95], v[57:64] neg_lo:[1,1,0]
	ds_load_u16_d16 v94, v74 offset:9510
	ds_load_u16 v86, v82 offset:2080
	ds_load_u16_d16 v96, v82 offset:2664
	ds_load_u16 v97, v82 offset:2924
	s_wait_dscnt 0x8
	v_perm_b32 v89, v88, v89, 0x1000504
	ds_load_u16 v88, v74 offset:8286
	s_wait_dscnt 0x7
	v_perm_b32 v91, v90, v91, 0x1000504
	;; [unrolled: 3-line block ×4, first 2 shown]
	ds_load_u16 v94, v74 offset:8478
	ds_load_u16_d16 v98, v82 offset:3640
	s_wait_dscnt 0x5
	v_perm_b32 v97, v96, v97, 0x1000504
	ds_load_u16 v96, v82 offset:2144
	s_wait_dscnt 0x5
	ds_load_u16_d16_hi v88, v74 offset:8802
	ds_load_u16_d16_hi v86, v82 offset:2340
	s_wait_dscnt 0x6
	ds_load_u16_d16_hi v90, v74 offset:8866
	s_wait_dscnt 0x6
	;; [unrolled: 2-line block ×4, first 2 shown]
	v_wmma_i32_16x16x16_iu8 v[49:56], v[86:87], v[88:89], v[49:56] neg_lo:[1,1,0]
	s_wait_dscnt 0x2
	v_wmma_i32_16x16x16_iu8 v[33:40], v[86:87], v[90:91], v[33:40] neg_lo:[1,1,0]
	s_wait_dscnt 0x1
	;; [unrolled: 2-line block ×3, first 2 shown]
	v_wmma_i32_16x16x16_iu8 v[9:16], v[86:87], v[94:95], v[9:16] neg_lo:[1,1,0]
	ds_load_u16 v87, v82 offset:3900
	ds_load_u16 v99, v74 offset:12090
	ds_load_u16_d16_hi v96, v82 offset:2404
	s_wait_dscnt 0x2
	v_perm_b32 v87, v98, v87, 0x1000504
	s_wait_dscnt 0x0
	v_wmma_i32_16x16x16_iu8 v[1:8], v[96:97], v[88:89], v[1:8] neg_lo:[1,1,0]
	ds_load_u16_d16 v88, v74 offset:11382
	ds_load_u16 v89, v74 offset:11898
	v_wmma_i32_16x16x16_iu8 v[25:32], v[96:97], v[90:91], v[25:32] neg_lo:[1,1,0]
	ds_load_u16_d16 v90, v74 offset:11446
	ds_load_u16 v91, v74 offset:11962
	v_wmma_i32_16x16x16_iu8 v[41:48], v[96:97], v[92:93], v[41:48] neg_lo:[1,1,0]
	ds_load_u16 v92, v74 offset:12026
	ds_load_u16_d16 v93, v74 offset:11510
	v_wmma_i32_16x16x16_iu8 v[57:64], v[96:97], v[94:95], v[57:64] neg_lo:[1,1,0]
	ds_load_u16_d16 v94, v74 offset:11574
	ds_load_u16 v95, v82 offset:3964
	ds_load_u16 v86, v82 offset:3120
	ds_load_u16_d16 v98, v82 offset:3704
	ds_load_u16 v96, v74 offset:10542
	s_wait_dscnt 0x9
	v_perm_b32 v89, v88, v89, 0x1000504
	ds_load_u16 v88, v74 offset:10350
	s_wait_dscnt 0x8
	v_perm_b32 v91, v90, v91, 0x1000504
	;; [unrolled: 3-line block ×4, first 2 shown]
	s_wait_dscnt 0x4
	v_perm_b32 v99, v98, v95, 0x1000504
	ds_load_u16 v98, v82 offset:3184
	ds_load_u16_d16_hi v86, v82 offset:3380
	s_wait_dscnt 0x4
	ds_load_u16_d16_hi v88, v74 offset:10866
	s_wait_dscnt 0x4
	;; [unrolled: 2-line block ×3, first 2 shown]
	ds_load_u16_d16_hi v92, v74 offset:10994
	ds_load_u16_d16_hi v96, v74 offset:11058
	buffer_load_u16 v116, v109, s[48:51], null offen offset:64
	s_wait_dscnt 0x5
	ds_load_u16_d16_hi v98, v82 offset:3444
	s_wait_dscnt 0x4
	v_wmma_i32_16x16x16_iu8 v[49:56], v[86:87], v[88:89], v[49:56] neg_lo:[1,1,0]
	s_wait_dscnt 0x3
	v_wmma_i32_16x16x16_iu8 v[33:40], v[86:87], v[90:91], v[33:40] neg_lo:[1,1,0]
	;; [unrolled: 2-line block ×5, first 2 shown]
	s_wait_loadcnt 0x6
	v_cndmask_b32_e64 v97, 0, v114, s5
	v_cmp_gt_i32_e64 s5, s54, v125
	v_wmma_i32_16x16x16_iu8 v[1:8], v[98:99], v[88:89], v[1:8] neg_lo:[1,1,0]
	s_clause 0x1
	buffer_load_u16 v89, v109, s[48:51], null offen offset:66
	buffer_load_u16 v86, v109, s[48:51], null offen offset:68
	v_wmma_i32_16x16x16_iu8 v[25:32], v[98:99], v[90:91], v[25:32] neg_lo:[1,1,0]
	s_clause 0x1
	buffer_load_u16 v87, v109, s[48:51], null offen offset:70
	buffer_load_u16 v95, v109, s[48:51], null offen offset:72
	;; [unrolled: 4-line block ×3, first 2 shown]
	buffer_load_u16 v88, v109, s[48:51], null offen offset:78
	buffer_load_u16 v118, v110, s[48:51], null offen offset:64
	;; [unrolled: 1-line block ×5, first 2 shown]
	v_cndmask_b32_e64 v96, 0, v112, s6
	s_and_b32 s6, s3, s5
	s_and_b32 s5, s4, s5
	v_add_nc_u32_e32 v125, 0x42, v100
	s_wait_alu 0xfffe
	v_cndmask_b32_e64 v98, 0, v113, s5
	v_lshl_or_b32 v126, v97, 16, v96
	v_cndmask_b32_e64 v96, 0, v111, s6
	v_add_nc_u32_e32 v111, v67, v76
	buffer_load_u16 v97, v110, s[48:51], null offen offset:72
	v_cmp_gt_i32_e64 s6, s53, v125
	v_cmp_gt_i32_e64 s5, s54, v125
	v_lshl_or_b32 v127, v98, 16, v96
	s_clause 0x12
	buffer_load_u16 v99, v110, s[48:51], null offen offset:74
	buffer_load_u16 v98, v110, s[48:51], null offen offset:76
	;; [unrolled: 1-line block ×19, first 2 shown]
	v_add_nc_u32_e32 v125, 0x48, v100
	s_and_b32 s35, s3, s5
	s_and_b32 s5, s4, s5
	s_wait_dscnt 0x0
	s_barrier_signal -1
	v_cmp_gt_i32_e64 s8, s53, v125
	v_cmp_gt_i32_e64 s15, s54, v125
	v_add_nc_u32_e32 v125, 0x4a, v100
	s_barrier_wait -1
	s_wait_alu 0xfffe
	v_cndmask_b32_e64 v81, 0, v81, s35
	v_cndmask_b32_e64 v83, 0, v83, s5
	s_and_b32 s23, s0, s6
	v_cmp_gt_i32_e64 s9, s53, v125
	v_cmp_gt_i32_e64 s16, s54, v125
	v_add_nc_u32_e32 v125, 0x4c, v100
	v_add_nc_u32_e32 v100, 0x4e, v100
	s_and_b32 s24, vcc_lo, s6
	v_add_nc_u32_e32 v76, 64, v76
	ds_store_2addr_b32 v69, v127, v126 offset1:65
	v_cmp_gt_i32_e64 s10, s53, v125
	v_cmp_gt_i32_e64 s14, s54, v100
	;; [unrolled: 1-line block ×4, first 2 shown]
	ds_store_b16 v69, v83 offset:132
	ds_store_b16 v69, v81 offset:130
	s_and_b32 s21, vcc_lo, s10
	s_and_b32 s22, s2, s10
	s_and_b32 s25, s4, s14
	;; [unrolled: 1-line block ×3, first 2 shown]
	s_wait_loadcnt 0x20
	s_wait_alu 0xfffe
	v_cndmask_b32_e64 v85, 0, v85, s25
	v_cndmask_b32_e64 v84, 0, v84, s14
	s_and_b32 s30, s2, s13
	s_and_b32 s31, s1, s13
	s_and_b32 s33, s0, s13
	s_and_b32 s13, vcc_lo, s13
	s_wait_loadcnt 0x1e
	v_cndmask_b32_e64 v89, 0, v89, s24
	s_wait_loadcnt 0x1d
	v_cndmask_b32_e64 v86, 0, v86, s27
	;; [unrolled: 2-line block ×4, first 2 shown]
	s_and_b32 s19, s4, s18
	s_and_b32 s18, s3, s18
	s_wait_alu 0xfffe
	v_cndmask_b32_e64 v108, 0, v108, s19
	v_cndmask_b32_e64 v105, 0, v105, s18
	s_and_b32 s18, s3, s15
	s_and_b32 s15, s4, s15
	s_wait_alu 0xfffe
	v_cndmask_b32_e64 v104, 0, v104, s18
	ds_store_b16 v69, v108 offset:392
	ds_store_b16 v69, v105 offset:390
	s_wait_loadcnt 0xf
	v_cndmask_b32_e64 v117, 0, v128, s20
	s_and_b32 s20, s0, s10
	s_wait_loadcnt 0xd
	v_cndmask_b32_e64 v109, 0, v109, s36
	ds_store_b16 v69, v104 offset:520
	v_cndmask_b32_e64 v104, 0, v107, s15
	s_and_b32 s15, s4, s16
	s_and_b32 s10, s1, s10
	s_wait_loadcnt 0xc
	v_cndmask_b32_e64 v110, 0, v110, s34
	s_wait_loadcnt 0x9
	s_wait_alu 0xfffe
	v_cndmask_b32_e64 v105, 0, v113, s10
	s_wait_loadcnt 0x0
	v_cndmask_b32_e64 v113, 0, v119, s7
	ds_store_b16 v69, v104 offset:522
	v_cndmask_b32_e64 v104, 0, v106, s15
	s_and_b32 s15, s3, s16
	s_and_b32 s16, s2, s8
	s_wait_alu 0xfffe
	v_cndmask_b32_e64 v102, 0, v102, s15
	s_and_b32 s15, s3, s17
	s_and_b32 s18, s1, s9
	s_wait_alu 0xfffe
	v_cndmask_b32_e64 v101, 0, v101, s15
	s_and_b32 s15, s4, s17
	ds_store_b16 v69, v104 offset:652
	ds_store_b16 v69, v102 offset:650
	;; [unrolled: 1-line block ×4, first 2 shown]
	s_wait_alu 0xfffe
	v_cndmask_b32_e64 v101, 0, v103, s15
	s_and_b32 s15, vcc_lo, s12
	s_and_b32 s12, s2, s12
	s_and_b32 s17, s2, s9
	v_cndmask_b32_e64 v102, 0, v123, s16
	ds_store_b16 v69, v101 offset:782
	s_wait_alu 0xfffe
	v_cndmask_b32_e64 v101, 0, v116, s15
	s_and_b32 s15, vcc_lo, s8
	s_and_b32 s19, s0, s9
	s_wait_alu 0xfffe
	v_cndmask_b32_e64 v95, 0, v95, s15
	s_and_b32 s9, vcc_lo, s9
	ds_store_b16 v70, v101 offset:4158
	v_cndmask_b32_e64 v101, 0, v129, s12
	s_and_b32 s12, s2, s6
	s_and_b32 s6, s1, s6
	v_cndmask_b32_e64 v103, 0, v114, s18
	s_wait_alu 0xfffe
	v_cndmask_b32_e64 v107, 0, v112, s6
	ds_store_b16 v70, v101 offset:4164
	v_cndmask_b32_e64 v101, 0, v130, s12
	s_and_b32 s12, s0, s8
	s_and_b32 s8, s1, s8
	s_wait_alu 0xfffe
	v_cndmask_b32_e64 v97, 0, v97, s12
	v_cndmask_b32_e64 v112, 0, v120, s11
	ds_store_b16 v70, v101 offset:4422
	ds_store_b16 v70, v107 offset:4420
	v_cndmask_b32_e64 v101, 0, v115, s8
	v_cndmask_b32_e64 v104, 0, v124, s17
	;; [unrolled: 1-line block ×7, first 2 shown]
	v_lshrrev_b16 v107, 8, v95
	v_perm_b32 v95, v97, v95, 0x5040100
	v_lshrrev_b16 v97, 8, v97
	v_cndmask_b32_e64 v91, 0, v91, s26
	ds_store_b16 v70, v112 offset:4938
	v_lshrrev_b16 v112, 8, v101
	v_perm_b32 v101, v102, v101, 0x5040100
	v_lshrrev_b16 v102, 8, v102
	v_cndmask_b32_e64 v90, 0, v90, s28
	v_lshrrev_b16 v110, 8, v103
	v_perm_b32 v103, v104, v103, 0x5040100
	v_lshrrev_b16 v104, 8, v104
	v_cndmask_b32_e64 v106, 0, v122, s22
	v_cndmask_b32_e64 v108, 0, v111, s31
	;; [unrolled: 1-line block ×5, first 2 shown]
	ds_store_b16 v70, v109 offset:4678
	v_lshrrev_b16 v109, 8, v94
	v_perm_b32 v94, v99, v94, 0x5040100
	v_lshrrev_b16 v99, 8, v99
	ds_store_b16 v70, v113 offset:4680
	v_lshrrev_b16 v113, 8, v93
	v_perm_b32 v93, v98, v93, 0x5040100
	v_lshrrev_b16 v98, 8, v98
	v_lshrrev_b16 v81, 8, v89
	v_perm_b32 v89, v92, v89, 0x5040100
	v_lshrrev_b16 v92, 8, v92
	v_perm_b32 v97, v97, v107, 0x5040100
	;; [unrolled: 2-line block ×7, first 2 shown]
	v_lshrrev_b16 v87, 8, v90
	v_lshrrev_b16 v83, 8, v105
	v_perm_b32 v105, v106, v105, 0x5040100
	v_lshrrev_b16 v106, 8, v106
	v_perm_b32 v90, v99, v109, 0x5040100
	;; [unrolled: 2-line block ×6, first 2 shown]
	v_perm_b32 v84, v84, v107, 0x5040100
	v_perm_b32 v86, v86, v102, 0x5040100
	;; [unrolled: 1-line block ×6, first 2 shown]
	v_pk_lshlrev_b16 v81, 8, v81 op_sel_hi:[0,1]
	v_pk_lshlrev_b16 v99, 8, v84 op_sel_hi:[0,1]
	;; [unrolled: 1-line block ×8, first 2 shown]
	v_lshl_or_b32 v100, v117, 16, v100
	v_pk_lshlrev_b16 v97, 8, v98 op_sel_hi:[0,1]
	v_pk_lshlrev_b16 v98, 8, v83 op_sel_hi:[0,1]
	;; [unrolled: 1-line block ×4, first 2 shown]
	v_and_or_b32 v81, 0xff00ff, v89, v81
	v_and_or_b32 v89, 0xff00ff, v114, v99
	;; [unrolled: 1-line block ×5, first 2 shown]
	s_cmp_lg_u32 s56, 0
	v_and_or_b32 v86, 0xff00ff, v103, v91
	v_and_or_b32 v91, 0xff00ff, v110, v104
	;; [unrolled: 1-line block ×7, first 2 shown]
	ds_store_2addr_stride64_b32 v71, v100, v81 offset0:16 offset1:17
	ds_store_b32 v69, v89 offset:910
	ds_store_b32 v70, v90 offset:4674
	;; [unrolled: 1-line block ×3, first 2 shown]
	ds_store_b64 v70, v[83:84] offset:5190
	ds_store_b64 v70, v[85:86] offset:5448
	;; [unrolled: 1-line block ×3, first 2 shown]
	ds_store_2addr_b32 v73, v93, v92 offset1:1
	s_cbranch_scc1 .LBB1_1
; %bb.2:
	s_wait_dscnt 0x0
	s_barrier_signal -1
	s_barrier_wait -1
	ds_load_u16 v85, v82 offset:2080
	ds_load_u16_d16 v68, v74 offset:5190
	ds_load_u16 v70, v74 offset:5706
	ds_load_u16 v87, v82
	ds_load_u16_d16 v84, v82 offset:520
	ds_load_u16 v89, v82 offset:1040
	ds_load_u16_d16 v86, v82 offset:1560
	ds_load_u16 v113, v82 offset:1884
	v_lshlrev_b32_e32 v80, 4, v80
	v_bfe_u32 v134, v0, 2, 5
	v_lshrrev_b32_e32 v0, 7, v0
	s_and_b32 s41, s41, 0xffff
	s_lshl_b32 s4, s38, 5
	s_wait_dscnt 0x7
	ds_load_u16_d16_hi v85, v82 offset:2340
	ds_load_u16 v88, v82 offset:780
	ds_load_u16 v71, v82 offset:64
	;; [unrolled: 1-line block ×3, first 2 shown]
	ds_load_u16_d16 v90, v74 offset:7254
	ds_load_u16 v92, v74 offset:7770
	ds_load_u16 v77, v74 offset:6286
	;; [unrolled: 1-line block ×4, first 2 shown]
	ds_load_u16_d16 v96, v74 offset:7382
	ds_load_u16 v93, v74 offset:6414
	ds_load_u16 v83, v74 offset:4222
	;; [unrolled: 1-line block ×3, first 2 shown]
	ds_load_u16_d16 v98, v74 offset:11382
	ds_load_u16 v100, v74 offset:11898
	ds_load_u16 v69, v74 offset:8286
	ds_load_u16_d16 v102, v74 offset:9318
	ds_load_u16 v104, v74 offset:9834
	ds_load_u16 v79, v74 offset:8350
	;; [unrolled: 1-line block ×4, first 2 shown]
	ds_load_u16_d16 v112, v74 offset:9446
	ds_load_u16 v97, v74 offset:8478
	ds_load_u16 v75, v74 offset:4158
	;; [unrolled: 1-line block ×5, first 2 shown]
	ds_load_u16_d16 v110, v82 offset:3640
	ds_load_u16 v114, v82 offset:3964
	ds_load_u16 v115, v82 offset:2924
	ds_load_u16_d16 v116, v82 offset:2600
	ds_load_u16 v103, v82 offset:3120
	s_wait_dscnt 0x13
	ds_load_u16_d16_hi v65, v82 offset:3444
	ds_load_u16 v117, v82 offset:3900
	ds_load_u16 v118, v82 offset:2860
	;; [unrolled: 1-line block ×4, first 2 shown]
	ds_load_u16_d16 v120, v74 offset:5254
	ds_load_u16_d16_hi v83, v74 offset:4738
	ds_load_u16_d16 v121, v82 offset:3704
	ds_load_u16 v122, v74 offset:5898
	ds_load_u16 v123, v74 offset:5770
	ds_load_u16_d16 v124, v74 offset:5318
	s_wait_dscnt 0x13
	ds_load_u16_d16_hi v75, v74 offset:4674
	s_wait_dscnt 0x13
	ds_load_u16_d16_hi v99, v74 offset:4802
	v_perm_b32 v76, v68, v70, 0x1000504
	v_perm_b32 v70, v102, v104, 0x1000504
	ds_load_u16 v105, v74 offset:10350
	ds_load_u16 v102, v74 offset:12026
	ds_load_u16_d16 v125, v74 offset:11510
	ds_load_u16 v107, v74 offset:10542
	ds_load_u16_d16_hi v87, v82 offset:260
	ds_load_u16 v109, v74 offset:10414
	ds_load_u16 v111, v74 offset:10478
	ds_load_u16_d16_hi v89, v82 offset:1300
	ds_load_u16 v126, v82 offset:844
	s_wait_dscnt 0x1c
	ds_load_u16_d16_hi v73, v82 offset:1364
	ds_load_u16_d16_hi v67, v74 offset:6738
	v_perm_b32 v68, v90, v92, 0x1000504
	v_perm_b32 v88, v84, v88, 0x1000504
	v_and_b32_e32 v84, 8, v72
	v_perm_b32 v106, v98, v100, 0x1000504
	s_wait_dscnt 0x16
	v_perm_b32 v104, v110, v117, 0x1000504
	v_and_or_b32 v72, v72, 16, v78
	s_wait_dscnt 0x13
	v_perm_b32 v90, v86, v119, 0x1000504
	ds_load_u16_d16 v119, v82 offset:1624
	ds_load_u16_d16_hi v71, v82 offset:324
	ds_load_u16_d16 v127, v82 offset:584
	ds_load_u16_d16_hi v101, v74 offset:4866
	ds_load_u16_d16_hi v103, v82 offset:3380
	v_perm_b32 v86, v116, v118, 0x1000504
	ds_load_u16_d16_hi v69, v74 offset:8802
	ds_load_u16_d16 v116, v82 offset:2664
	ds_load_u16_d16_hi v81, v82 offset:2404
	s_wait_dscnt 0x12
	ds_load_u16_d16_hi v105, v74 offset:10866
	v_and_or_b32 v80, v80, 16, v84
	ds_load_u16_d16_hi v77, v74 offset:6802
	ds_load_u16_d16_hi v91, v74 offset:6866
	;; [unrolled: 1-line block ×3, first 2 shown]
	ds_load_u16 v82, v74 offset:7834
	ds_load_u16_d16 v92, v74 offset:7318
	ds_load_u16_d16_hi v79, v74 offset:8866
	ds_load_u16_d16_hi v95, v74 offset:8930
	;; [unrolled: 1-line block ×3, first 2 shown]
	ds_load_u16 v98, v74 offset:9898
	ds_load_u16_d16 v100, v74 offset:9382
	s_wait_dscnt 0x19
	v_wmma_i32_16x16x16_iu8 v[49:56], v[87:88], v[75:76], v[49:56] neg_lo:[1,1,0]
	v_perm_b32 v84, v120, v123, 0x1000504
	v_lshlrev_b32_e32 v80, 7, v80
	s_wait_dscnt 0x13
	s_delay_alu instid0(VALU_DEP_3) | instskip(NEXT) | instid1(VALU_DEP_3)
	v_wmma_i32_16x16x16_iu8 v[49:56], v[89:90], v[67:68], v[49:56] neg_lo:[1,1,0]
	v_wmma_i32_16x16x16_iu8 v[33:40], v[87:88], v[83:84], v[33:40] neg_lo:[1,1,0]
	s_delay_alu instid0(VALU_DEP_3)
	v_lshl_or_b32 v117, v72, 2, v80
	ds_load_u16_d16_hi v109, v74 offset:10930
	ds_load_u16_d16_hi v111, v74 offset:10994
	ds_load_u16_d16_hi v107, v74 offset:11058
	ds_load_u16 v72, v74 offset:11962
	ds_load_u16_d16 v110, v74 offset:11446
	ds_load_u16 v118, v74 offset:5834
	ds_load_u16_d16 v128, v74 offset:5382
	ds_load_u16_d16 v129, v74 offset:7446
	ds_load_u16 v130, v74 offset:7962
	ds_load_u16_d16 v131, v74 offset:9510
	ds_load_u16 v132, v74 offset:10026
	;; [unrolled: 2-line block ×3, first 2 shown]
	s_wait_dscnt 0x0
	s_barrier_signal -1
	s_barrier_wait -1
	v_wmma_i32_16x16x16_iu8 v[49:56], v[85:86], v[69:70], v[49:56] neg_lo:[1,1,0]
	s_delay_alu instid0(VALU_DEP_1)
	v_wmma_i32_16x16x16_iu8 v[49:56], v[103:104], v[105:106], v[49:56] neg_lo:[1,1,0]
	ds_store_2addr_b32 v117, v49, v50 offset1:32
	ds_store_2addr_b32 v117, v51, v52 offset0:64 offset1:96
	ds_store_2addr_b32 v117, v53, v54 offset0:128 offset1:160
	;; [unrolled: 1-line block ×3, first 2 shown]
	v_lshlrev_b32_e32 v49, 7, v134
	v_lshlrev_b32_e32 v50, 12, v0
	;; [unrolled: 1-line block ×3, first 2 shown]
	s_wait_dscnt 0x0
	s_barrier_signal -1
	s_barrier_wait -1
	v_add_nc_u32_e32 v0, s43, v0
	v_or3_b32 v135, v49, v50, v51
	ds_load_2addr_b64 v[49:52], v135 offset0:2 offset1:3
	ds_load_2addr_b64 v[53:56], v135 offset1:1
	v_lshl_or_b32 v120, v0, 6, v134
	v_lshl_or_b32 v0, s52, 7, v66
	v_perm_b32 v78, v92, v82, 0x1000504
	v_perm_b32 v110, v110, v72, 0x1000504
	;; [unrolled: 1-line block ×3, first 2 shown]
	v_cmp_gt_i32_e64 s1, s37, v120
	v_cmp_gt_i32_e32 vcc_lo, s39, v0
	v_wmma_i32_16x16x16_iu8 v[33:40], v[89:90], v[77:78], v[33:40] neg_lo:[1,1,0]
	s_mov_b32 s43, 0x31004000
	v_perm_b32 v100, v124, v118, 0x1000504
	v_perm_b32 v92, v96, v94, 0x1000504
	s_and_b32 s0, vcc_lo, s1
	v_wmma_i32_16x16x16_iu8 v[33:40], v[85:86], v[79:80], v[33:40] neg_lo:[1,1,0]
	v_perm_b32 v96, v112, v108, 0x1000504
	v_wmma_i32_16x16x16_iu8 v[17:24], v[87:88], v[99:100], v[17:24] neg_lo:[1,1,0]
	v_perm_b32 v112, v125, v102, 0x1000504
	v_perm_b32 v102, v128, v122, 0x1000504
	v_wmma_i32_16x16x16_iu8 v[33:40], v[103:104], v[109:110], v[33:40] neg_lo:[1,1,0]
	s_wait_dscnt 0x1
	v_and_b32_e32 v49, 0xff, v49
	v_lshlrev_b16 v50, 8, v50
	v_and_b32_e32 v51, 0xff, v51
	v_lshlrev_b16 v52, 8, v52
	s_wait_dscnt 0x0
	v_and_b32_e32 v53, 0xff, v53
	v_lshlrev_b16 v54, 8, v54
	v_and_b32_e32 v55, 0xff, v55
	v_lshlrev_b16 v56, 8, v56
	v_or_b32_e32 v72, v49, v50
	v_mad_co_u64_u32 v[49:50], null, v120, s38, v[0:1]
	v_or_b32_e32 v51, v51, v52
	v_or_b32_e32 v52, v53, v54
	v_or_b32_e32 v50, v55, v56
	v_and_b32_e32 v53, 0xffff, v72
	v_cndmask_b32_e64 v54, 0x80000000, 0, s0
	v_lshlrev_b32_e32 v51, 16, v51
	v_and_b32_e32 v52, 0xffff, v52
	v_lshlrev_b32_e32 v50, 16, v50
	v_wmma_i32_16x16x16_iu8 v[17:24], v[89:90], v[91:92], v[17:24] neg_lo:[1,1,0]
	v_perm_b32 v94, v129, v130, 0x1000504
	v_or_b32_e32 v51, v53, v51
	v_wmma_i32_16x16x16_iu8 v[9:16], v[87:88], v[101:102], v[9:16] neg_lo:[1,1,0]
	v_or_b32_e32 v50, v52, v50
	v_add_nc_u32_e32 v52, v54, v49
	v_wmma_i32_16x16x16_iu8 v[17:24], v[85:86], v[95:96], v[17:24] neg_lo:[1,1,0]
	v_perm_b32 v98, v131, v132, 0x1000504
	v_wmma_i32_16x16x16_iu8 v[9:16], v[89:90], v[93:94], v[9:16] neg_lo:[1,1,0]
	v_perm_b32 v108, v133, v74, 0x1000504
	buffer_store_b64 v[50:51], v52, s[40:43], null offen
	s_wait_dscnt 0x0
	s_barrier_signal -1
	s_barrier_wait -1
	ds_store_2addr_b32 v117, v33, v34 offset1:32
	ds_store_2addr_b32 v117, v35, v36 offset0:64 offset1:96
	ds_store_2addr_b32 v117, v37, v38 offset0:128 offset1:160
	;; [unrolled: 1-line block ×3, first 2 shown]
	s_wait_dscnt 0x0
	s_barrier_signal -1
	s_barrier_wait -1
	ds_load_2addr_b64 v[33:36], v135 offset0:2 offset1:3
	ds_load_2addr_b64 v[37:40], v135 offset1:1
	v_or_b32_e32 v50, 32, v0
	v_wmma_i32_16x16x16_iu8 v[17:24], v[103:104], v[111:112], v[17:24] neg_lo:[1,1,0]
	v_wmma_i32_16x16x16_iu8 v[9:16], v[85:86], v[97:98], v[9:16] neg_lo:[1,1,0]
	v_perm_b32 v72, v127, v126, 0x1000504
	v_perm_b32 v74, v119, v113, 0x1000504
	v_cmp_gt_i32_e64 s0, s39, v50
	v_perm_b32 v82, v116, v115, 0x1000504
	v_wmma_i32_16x16x16_iu8 v[9:16], v[103:104], v[107:108], v[9:16] neg_lo:[1,1,0]
	v_wmma_i32_16x16x16_iu8 v[57:64], v[71:72], v[101:102], v[57:64] neg_lo:[1,1,0]
	v_perm_b32 v66, v121, v114, 0x1000504
	s_and_b32 s2, s1, s0
	v_wmma_i32_16x16x16_iu8 v[41:48], v[71:72], v[99:100], v[41:48] neg_lo:[1,1,0]
	v_wmma_i32_16x16x16_iu8 v[25:32], v[71:72], v[83:84], v[25:32] neg_lo:[1,1,0]
	;; [unrolled: 1-line block ×4, first 2 shown]
	s_delay_alu instid0(VALU_DEP_4) | instskip(NEXT) | instid1(VALU_DEP_4)
	v_wmma_i32_16x16x16_iu8 v[41:48], v[73:74], v[91:92], v[41:48] neg_lo:[1,1,0]
	v_wmma_i32_16x16x16_iu8 v[25:32], v[73:74], v[77:78], v[25:32] neg_lo:[1,1,0]
	s_wait_dscnt 0x1
	v_and_b32_e32 v33, 0xff, v33
	v_lshlrev_b16 v34, 8, v34
	v_and_b32_e32 v35, 0xff, v35
	v_lshlrev_b16 v36, 8, v36
	s_wait_dscnt 0x0
	v_and_b32_e32 v37, 0xff, v37
	v_lshlrev_b16 v38, 8, v38
	v_and_b32_e32 v39, 0xff, v39
	v_lshlrev_b16 v40, 8, v40
	v_or_b32_e32 v33, v33, v34
	v_or_b32_e32 v34, v35, v36
	;; [unrolled: 1-line block ×3, first 2 shown]
	v_cndmask_b32_e64 v37, 0x80000000, 0, s2
	v_or_b32_e32 v36, v39, v40
	v_and_b32_e32 v33, 0xffff, v33
	v_lshlrev_b32_e32 v34, 16, v34
	v_and_b32_e32 v35, 0xffff, v35
	v_add_nc_u32_e32 v37, v49, v37
	v_lshlrev_b32_e32 v36, 16, v36
	v_wmma_i32_16x16x16_iu8 v[57:64], v[81:82], v[97:98], v[57:64] neg_lo:[1,1,0]
	v_or_b32_e32 v34, v33, v34
	v_wmma_i32_16x16x16_iu8 v[41:48], v[81:82], v[95:96], v[41:48] neg_lo:[1,1,0]
	v_wmma_i32_16x16x16_iu8 v[25:32], v[81:82], v[79:80], v[25:32] neg_lo:[1,1,0]
	v_or_b32_e32 v33, v35, v36
	v_wmma_i32_16x16x16_iu8 v[57:64], v[65:66], v[107:108], v[57:64] neg_lo:[1,1,0]
	v_wmma_i32_16x16x16_iu8 v[1:8], v[73:74], v[67:68], v[1:8] neg_lo:[1,1,0]
	;; [unrolled: 1-line block ×4, first 2 shown]
	buffer_store_b64 v[33:34], v37, s[40:43], null offen offset:32
	s_wait_dscnt 0x0
	s_barrier_signal -1
	s_barrier_wait -1
	ds_store_2addr_b32 v117, v17, v18 offset1:32
	ds_store_2addr_b32 v117, v19, v20 offset0:64 offset1:96
	ds_store_2addr_b32 v117, v21, v22 offset0:128 offset1:160
	;; [unrolled: 1-line block ×3, first 2 shown]
	s_wait_dscnt 0x0
	s_barrier_signal -1
	s_barrier_wait -1
	ds_load_2addr_b64 v[17:20], v135 offset0:2 offset1:3
	ds_load_2addr_b64 v[21:24], v135 offset1:1
	v_or_b32_e32 v33, 64, v0
	v_or_b32_e32 v0, 0x60, v0
	v_wmma_i32_16x16x16_iu8 v[1:8], v[81:82], v[69:70], v[1:8] neg_lo:[1,1,0]
	s_delay_alu instid0(VALU_DEP_3) | instskip(NEXT) | instid1(VALU_DEP_2)
	v_cmp_gt_i32_e64 s2, s39, v33
	v_wmma_i32_16x16x16_iu8 v[1:8], v[65:66], v[105:106], v[1:8] neg_lo:[1,1,0]
	s_and_b32 s3, s1, s2
	s_wait_dscnt 0x1
	v_and_b32_e32 v17, 0xff, v17
	v_lshlrev_b16 v18, 8, v18
	v_and_b32_e32 v19, 0xff, v19
	v_lshlrev_b16 v20, 8, v20
	s_wait_dscnt 0x0
	v_and_b32_e32 v21, 0xff, v21
	v_lshlrev_b16 v22, 8, v22
	v_and_b32_e32 v23, 0xff, v23
	v_lshlrev_b16 v24, 8, v24
	v_or_b32_e32 v17, v17, v18
	v_or_b32_e32 v18, v19, v20
	;; [unrolled: 1-line block ×3, first 2 shown]
	s_wait_alu 0xfffe
	v_cndmask_b32_e64 v21, 0x80000000, 0, s3
	v_or_b32_e32 v20, v23, v24
	v_and_b32_e32 v17, 0xffff, v17
	v_lshlrev_b32_e32 v18, 16, v18
	v_and_b32_e32 v19, 0xffff, v19
	v_add_nc_u32_e32 v21, v49, v21
	v_lshlrev_b32_e32 v20, 16, v20
	v_cmp_gt_i32_e64 s3, s39, v0
	v_or_b32_e32 v18, v17, v18
	s_delay_alu instid0(VALU_DEP_3)
	v_or_b32_e32 v17, v19, v20
	s_and_b32 s1, s1, s3
	buffer_store_b64 v[17:18], v21, s[40:43], null offen offset:64
	s_wait_dscnt 0x0
	s_barrier_signal -1
	s_barrier_wait -1
	ds_store_2addr_b32 v117, v9, v10 offset1:32
	ds_store_2addr_b32 v117, v11, v12 offset0:64 offset1:96
	ds_store_2addr_b32 v117, v13, v14 offset0:128 offset1:160
	;; [unrolled: 1-line block ×3, first 2 shown]
	s_wait_dscnt 0x0
	s_barrier_signal -1
	s_barrier_wait -1
	ds_load_2addr_b64 v[9:12], v135 offset0:2 offset1:3
	ds_load_2addr_b64 v[13:16], v135 offset1:1
	v_add_nc_u32_e32 v17, 0x60, v49
	s_wait_dscnt 0x1
	v_and_b32_e32 v9, 0xff, v9
	v_lshlrev_b16 v10, 8, v10
	v_and_b32_e32 v11, 0xff, v11
	v_lshlrev_b16 v12, 8, v12
	s_wait_dscnt 0x0
	v_and_b32_e32 v13, 0xff, v13
	v_lshlrev_b16 v14, 8, v14
	v_and_b32_e32 v15, 0xff, v15
	v_lshlrev_b16 v16, 8, v16
	v_or_b32_e32 v9, v9, v10
	v_or_b32_e32 v10, v11, v12
	;; [unrolled: 1-line block ×3, first 2 shown]
	v_cndmask_b32_e64 v13, 0x80000000, 0, s1
	v_or_b32_e32 v12, v15, v16
	v_and_b32_e32 v0, 0xffff, v9
	v_lshlrev_b32_e32 v9, 16, v10
	v_and_b32_e32 v11, 0xffff, v11
	s_delay_alu instid0(VALU_DEP_4) | instskip(NEXT) | instid1(VALU_DEP_3)
	v_lshlrev_b32_e32 v12, 16, v12
	v_or_b32_e32 v10, v0, v9
	v_add_nc_u32_e32 v0, v13, v17
	v_add_nc_u32_e32 v17, s4, v17
	s_delay_alu instid0(VALU_DEP_4)
	v_or_b32_e32 v9, v11, v12
	buffer_store_b64 v[9:10], v0, s[40:43], null offen
	s_wait_dscnt 0x0
	s_barrier_signal -1
	s_barrier_wait -1
	ds_store_2addr_b32 v117, v57, v58 offset1:32
	ds_store_2addr_b32 v117, v59, v60 offset0:64 offset1:96
	ds_store_2addr_b32 v117, v61, v62 offset0:128 offset1:160
	;; [unrolled: 1-line block ×3, first 2 shown]
	s_wait_dscnt 0x0
	s_barrier_signal -1
	s_barrier_wait -1
	ds_load_2addr_b64 v[9:12], v135 offset0:2 offset1:3
	ds_load_2addr_b64 v[13:16], v135 offset1:1
	v_or_b32_e32 v0, 32, v120
	s_delay_alu instid0(VALU_DEP_1)
	v_cmp_gt_i32_e64 s1, s37, v0
	s_and_b32 s3, s3, s1
	s_and_b32 s2, s2, s1
	;; [unrolled: 1-line block ×3, first 2 shown]
	s_wait_dscnt 0x1
	v_and_b32_e32 v9, 0xff, v9
	v_lshlrev_b16 v10, 8, v10
	v_and_b32_e32 v11, 0xff, v11
	v_lshlrev_b16 v12, 8, v12
	s_wait_dscnt 0x0
	v_and_b32_e32 v13, 0xff, v13
	v_lshlrev_b16 v14, 8, v14
	v_and_b32_e32 v15, 0xff, v15
	v_lshlrev_b16 v16, 8, v16
	v_or_b32_e32 v9, v9, v10
	v_or_b32_e32 v10, v11, v12
	;; [unrolled: 1-line block ×3, first 2 shown]
	s_wait_alu 0xfffe
	v_cndmask_b32_e64 v13, 0x80000000, 0, s3
	v_or_b32_e32 v12, v15, v16
	v_and_b32_e32 v0, 0xffff, v9
	v_lshlrev_b32_e32 v9, 16, v10
	v_and_b32_e32 v11, 0xffff, v11
	s_delay_alu instid0(VALU_DEP_4) | instskip(NEXT) | instid1(VALU_DEP_3)
	v_lshlrev_b32_e32 v12, 16, v12
	v_or_b32_e32 v10, v0, v9
	v_add_nc_u32_e32 v0, v13, v17
	s_delay_alu instid0(VALU_DEP_3)
	v_or_b32_e32 v9, v11, v12
	buffer_store_b64 v[9:10], v0, s[40:43], null offen
	s_wait_dscnt 0x0
	s_barrier_signal -1
	s_barrier_wait -1
	ds_store_2addr_b32 v117, v41, v42 offset1:32
	ds_store_2addr_b32 v117, v43, v44 offset0:64 offset1:96
	ds_store_2addr_b32 v117, v45, v46 offset0:128 offset1:160
	;; [unrolled: 1-line block ×3, first 2 shown]
	s_wait_dscnt 0x0
	s_barrier_signal -1
	s_barrier_wait -1
	ds_load_2addr_b64 v[9:12], v135 offset0:2 offset1:3
	ds_load_2addr_b64 v[13:16], v135 offset1:1
	s_wait_dscnt 0x1
	v_and_b32_e32 v0, 0xff, v9
	v_lshlrev_b16 v9, 8, v10
	v_and_b32_e32 v10, 0xff, v11
	v_lshlrev_b16 v11, 8, v12
	s_wait_dscnt 0x0
	v_and_b32_e32 v12, 0xff, v13
	v_lshlrev_b16 v13, 8, v14
	v_and_b32_e32 v14, 0xff, v15
	v_lshlrev_b16 v15, 8, v16
	v_or_b32_e32 v0, v0, v9
	v_or_b32_e32 v9, v10, v11
	;; [unrolled: 1-line block ×3, first 2 shown]
	v_cndmask_b32_e64 v13, 0x80000000, 0, s2
	v_or_b32_e32 v11, v14, v15
	v_and_b32_e32 v0, 0xffff, v0
	v_lshlrev_b32_e32 v9, 16, v9
	v_and_b32_e32 v12, 0xffff, v10
	s_delay_alu instid0(VALU_DEP_4) | instskip(NEXT) | instid1(VALU_DEP_3)
	v_lshlrev_b32_e32 v11, 16, v11
	v_or_b32_e32 v10, v0, v9
	v_add3_u32 v0, v17, v13, 0xffffffe0
	s_delay_alu instid0(VALU_DEP_3)
	v_or_b32_e32 v9, v12, v11
	buffer_store_b64 v[9:10], v0, s[40:43], null offen
	s_wait_dscnt 0x0
	s_barrier_signal -1
	s_barrier_wait -1
	ds_store_2addr_b32 v117, v25, v26 offset1:32
	ds_store_2addr_b32 v117, v27, v28 offset0:64 offset1:96
	ds_store_2addr_b32 v117, v29, v30 offset0:128 offset1:160
	;; [unrolled: 1-line block ×3, first 2 shown]
	s_wait_dscnt 0x0
	s_barrier_signal -1
	s_barrier_wait -1
	ds_load_2addr_b64 v[9:12], v135 offset0:2 offset1:3
	ds_load_2addr_b64 v[13:16], v135 offset1:1
	s_wait_dscnt 0x1
	v_and_b32_e32 v0, 0xff, v9
	v_lshlrev_b16 v9, 8, v10
	v_and_b32_e32 v10, 0xff, v11
	v_lshlrev_b16 v11, 8, v12
	s_wait_dscnt 0x0
	v_and_b32_e32 v12, 0xff, v13
	v_lshlrev_b16 v13, 8, v14
	v_and_b32_e32 v14, 0xff, v15
	v_lshlrev_b16 v15, 8, v16
	v_or_b32_e32 v0, v0, v9
	v_or_b32_e32 v9, v10, v11
	v_or_b32_e32 v10, v12, v13
	v_cndmask_b32_e64 v13, 0x80000000, 0, s0
	v_or_b32_e32 v11, v14, v15
	v_and_b32_e32 v0, 0xffff, v0
	v_lshlrev_b32_e32 v9, 16, v9
	v_and_b32_e32 v12, 0xffff, v10
	s_and_b32 s0, vcc_lo, s1
	v_lshlrev_b32_e32 v11, 16, v11
	s_delay_alu instid0(VALU_DEP_3) | instskip(SKIP_1) | instid1(VALU_DEP_3)
	v_or_b32_e32 v10, v0, v9
	v_add3_u32 v0, v17, v13, 0xffffffc0
	v_or_b32_e32 v9, v12, v11
	buffer_store_b64 v[9:10], v0, s[40:43], null offen
	s_wait_dscnt 0x0
	s_barrier_signal -1
	s_barrier_wait -1
	ds_store_2addr_b32 v117, v1, v2 offset1:32
	ds_store_2addr_b32 v117, v3, v4 offset0:64 offset1:96
	ds_store_2addr_b32 v117, v5, v6 offset0:128 offset1:160
	;; [unrolled: 1-line block ×3, first 2 shown]
	s_wait_dscnt 0x0
	s_barrier_signal -1
	s_barrier_wait -1
	ds_load_2addr_b64 v[0:3], v135 offset0:2 offset1:3
	ds_load_2addr_b64 v[4:7], v135 offset1:1
	s_wait_dscnt 0x1
	v_and_b32_e32 v0, 0xff, v0
	v_lshlrev_b16 v1, 8, v1
	v_and_b32_e32 v2, 0xff, v2
	v_lshlrev_b16 v3, 8, v3
	s_wait_dscnt 0x0
	v_and_b32_e32 v4, 0xff, v4
	v_lshlrev_b16 v5, 8, v5
	v_and_b32_e32 v6, 0xff, v6
	v_lshlrev_b16 v7, 8, v7
	v_or_b32_e32 v0, v0, v1
	v_or_b32_e32 v1, v2, v3
	;; [unrolled: 1-line block ×3, first 2 shown]
	v_cndmask_b32_e64 v4, 0x80000000, 0, s0
	v_or_b32_e32 v3, v6, v7
	v_and_b32_e32 v0, 0xffff, v0
	v_lshlrev_b32_e32 v1, 16, v1
	v_and_b32_e32 v2, 0xffff, v2
	s_delay_alu instid0(VALU_DEP_4) | instskip(NEXT) | instid1(VALU_DEP_3)
	v_lshlrev_b32_e32 v3, 16, v3
	v_or_b32_e32 v1, v0, v1
	s_delay_alu instid0(VALU_DEP_2)
	v_or_b32_e32 v0, v2, v3
	v_add3_u32 v2, v49, s4, v4
	buffer_store_b64 v[0:1], v2, s[40:43], null offen
	s_nop 0
	s_sendmsg sendmsg(MSG_DEALLOC_VGPRS)
	s_endpgm
	.section	.rodata,"a",@progbits
	.p2align	6, 0x0
	.amdhsa_kernel _ZN2ck16kernel_gemm_wmmaINS_17GridwiseGemm_WmmaILi128EaaiiaLNS_25InMemoryDataOperationEnumE0ENS_16TensorDescriptorINS_5TupleIJNS_5EmbedINS4_IJiiEEENS4_IJiNS_17integral_constantIiLi1EEEEEELb0EEENS_8RightPadIiiLb0EEESC_NS_7UnMergeINS4_IJiNS7_IiLi2EEEEEELb0EEENS_11PassThroughIiEEEEENS4_IJNS_8SequenceIJLi0EEEENSK_IJLi1EEEENSK_IJLi2EEEENSK_IJLi4EEEENSK_IJLi3EEEEEEENS4_IJNSK_IJLi1ELi2EEEESP_SO_NSK_IJLi5ELi6EEEENSK_IJLi7EEEEEEENSK_IJLi5ELi7ELi6EEEElEESW_NS3_INS4_IJSA_SC_SC_EEENS4_IJSL_SM_SN_EEENS4_IJSR_SP_SO_EEENSK_IJLi3ELi4EEEElEENS_16tensor_operation12element_wise11PassThroughES14_S14_Li64ELi128ELi64ELi16ELi16ELi2ELi2ELi4ENSK_IJLi4ELi32ELi1EEEENSK_IJLi1ELi0ELi2EEEES16_Li2ELi2ELi2ELb0ELb1ELb1ES15_S16_S16_Li2ELi2ELi2ELb0ELb1ELb1ELi1ELi1ENSK_IJLi1ELi32ELi1ELi4EEEELi8ELi1ELNS_13LoopSchedulerE0ELNS_15PipelineVersionE0EEEaaaSW_SW_NS3_INS4_IJSA_SC_SC_NSD_INS4_IJiNS7_IiLi64EEEEEELb0EEENSD_INS4_IJiNS7_IiLi128EEEEEELb0EEEEEENS4_IJSL_SM_SN_SP_SO_EEENS4_IJSR_SP_SO_SS_NSK_IJLi7ELi8EEEEEEENSK_IJLi5ELi6ELi7ELi8EEEElEES14_S14_S14_NS_31BlockToCTileMap_M00_N0_M01AdaptILi64ELi128ES11_iEELb1EEEvPKT0_PKT1_PT2_T3_T4_T5_T6_T7_T8_T9_
		.amdhsa_group_segment_fixed_size 12412
		.amdhsa_private_segment_fixed_size 0
		.amdhsa_kernarg_size 264
		.amdhsa_user_sgpr_count 2
		.amdhsa_user_sgpr_dispatch_ptr 0
		.amdhsa_user_sgpr_queue_ptr 0
		.amdhsa_user_sgpr_kernarg_segment_ptr 1
		.amdhsa_user_sgpr_dispatch_id 0
		.amdhsa_user_sgpr_private_segment_size 0
		.amdhsa_wavefront_size32 1
		.amdhsa_uses_dynamic_stack 0
		.amdhsa_enable_private_segment 0
		.amdhsa_system_sgpr_workgroup_id_x 1
		.amdhsa_system_sgpr_workgroup_id_y 0
		.amdhsa_system_sgpr_workgroup_id_z 0
		.amdhsa_system_sgpr_workgroup_info 0
		.amdhsa_system_vgpr_workitem_id 0
		.amdhsa_next_free_vgpr 140
		.amdhsa_next_free_sgpr 57
		.amdhsa_reserve_vcc 1
		.amdhsa_float_round_mode_32 0
		.amdhsa_float_round_mode_16_64 0
		.amdhsa_float_denorm_mode_32 3
		.amdhsa_float_denorm_mode_16_64 3
		.amdhsa_fp16_overflow 0
		.amdhsa_workgroup_processor_mode 1
		.amdhsa_memory_ordered 1
		.amdhsa_forward_progress 1
		.amdhsa_inst_pref_size 93
		.amdhsa_round_robin_scheduling 0
		.amdhsa_exception_fp_ieee_invalid_op 0
		.amdhsa_exception_fp_denorm_src 0
		.amdhsa_exception_fp_ieee_div_zero 0
		.amdhsa_exception_fp_ieee_overflow 0
		.amdhsa_exception_fp_ieee_underflow 0
		.amdhsa_exception_fp_ieee_inexact 0
		.amdhsa_exception_int_div_zero 0
	.end_amdhsa_kernel
	.section	.text._ZN2ck16kernel_gemm_wmmaINS_17GridwiseGemm_WmmaILi128EaaiiaLNS_25InMemoryDataOperationEnumE0ENS_16TensorDescriptorINS_5TupleIJNS_5EmbedINS4_IJiiEEENS4_IJiNS_17integral_constantIiLi1EEEEEELb0EEENS_8RightPadIiiLb0EEESC_NS_7UnMergeINS4_IJiNS7_IiLi2EEEEEELb0EEENS_11PassThroughIiEEEEENS4_IJNS_8SequenceIJLi0EEEENSK_IJLi1EEEENSK_IJLi2EEEENSK_IJLi4EEEENSK_IJLi3EEEEEEENS4_IJNSK_IJLi1ELi2EEEESP_SO_NSK_IJLi5ELi6EEEENSK_IJLi7EEEEEEENSK_IJLi5ELi7ELi6EEEElEESW_NS3_INS4_IJSA_SC_SC_EEENS4_IJSL_SM_SN_EEENS4_IJSR_SP_SO_EEENSK_IJLi3ELi4EEEElEENS_16tensor_operation12element_wise11PassThroughES14_S14_Li64ELi128ELi64ELi16ELi16ELi2ELi2ELi4ENSK_IJLi4ELi32ELi1EEEENSK_IJLi1ELi0ELi2EEEES16_Li2ELi2ELi2ELb0ELb1ELb1ES15_S16_S16_Li2ELi2ELi2ELb0ELb1ELb1ELi1ELi1ENSK_IJLi1ELi32ELi1ELi4EEEELi8ELi1ELNS_13LoopSchedulerE0ELNS_15PipelineVersionE0EEEaaaSW_SW_NS3_INS4_IJSA_SC_SC_NSD_INS4_IJiNS7_IiLi64EEEEEELb0EEENSD_INS4_IJiNS7_IiLi128EEEEEELb0EEEEEENS4_IJSL_SM_SN_SP_SO_EEENS4_IJSR_SP_SO_SS_NSK_IJLi7ELi8EEEEEEENSK_IJLi5ELi6ELi7ELi8EEEElEES14_S14_S14_NS_31BlockToCTileMap_M00_N0_M01AdaptILi64ELi128ES11_iEELb1EEEvPKT0_PKT1_PT2_T3_T4_T5_T6_T7_T8_T9_,"axG",@progbits,_ZN2ck16kernel_gemm_wmmaINS_17GridwiseGemm_WmmaILi128EaaiiaLNS_25InMemoryDataOperationEnumE0ENS_16TensorDescriptorINS_5TupleIJNS_5EmbedINS4_IJiiEEENS4_IJiNS_17integral_constantIiLi1EEEEEELb0EEENS_8RightPadIiiLb0EEESC_NS_7UnMergeINS4_IJiNS7_IiLi2EEEEEELb0EEENS_11PassThroughIiEEEEENS4_IJNS_8SequenceIJLi0EEEENSK_IJLi1EEEENSK_IJLi2EEEENSK_IJLi4EEEENSK_IJLi3EEEEEEENS4_IJNSK_IJLi1ELi2EEEESP_SO_NSK_IJLi5ELi6EEEENSK_IJLi7EEEEEEENSK_IJLi5ELi7ELi6EEEElEESW_NS3_INS4_IJSA_SC_SC_EEENS4_IJSL_SM_SN_EEENS4_IJSR_SP_SO_EEENSK_IJLi3ELi4EEEElEENS_16tensor_operation12element_wise11PassThroughES14_S14_Li64ELi128ELi64ELi16ELi16ELi2ELi2ELi4ENSK_IJLi4ELi32ELi1EEEENSK_IJLi1ELi0ELi2EEEES16_Li2ELi2ELi2ELb0ELb1ELb1ES15_S16_S16_Li2ELi2ELi2ELb0ELb1ELb1ELi1ELi1ENSK_IJLi1ELi32ELi1ELi4EEEELi8ELi1ELNS_13LoopSchedulerE0ELNS_15PipelineVersionE0EEEaaaSW_SW_NS3_INS4_IJSA_SC_SC_NSD_INS4_IJiNS7_IiLi64EEEEEELb0EEENSD_INS4_IJiNS7_IiLi128EEEEEELb0EEEEEENS4_IJSL_SM_SN_SP_SO_EEENS4_IJSR_SP_SO_SS_NSK_IJLi7ELi8EEEEEEENSK_IJLi5ELi6ELi7ELi8EEEElEES14_S14_S14_NS_31BlockToCTileMap_M00_N0_M01AdaptILi64ELi128ES11_iEELb1EEEvPKT0_PKT1_PT2_T3_T4_T5_T6_T7_T8_T9_,comdat
.Lfunc_end1:
	.size	_ZN2ck16kernel_gemm_wmmaINS_17GridwiseGemm_WmmaILi128EaaiiaLNS_25InMemoryDataOperationEnumE0ENS_16TensorDescriptorINS_5TupleIJNS_5EmbedINS4_IJiiEEENS4_IJiNS_17integral_constantIiLi1EEEEEELb0EEENS_8RightPadIiiLb0EEESC_NS_7UnMergeINS4_IJiNS7_IiLi2EEEEEELb0EEENS_11PassThroughIiEEEEENS4_IJNS_8SequenceIJLi0EEEENSK_IJLi1EEEENSK_IJLi2EEEENSK_IJLi4EEEENSK_IJLi3EEEEEEENS4_IJNSK_IJLi1ELi2EEEESP_SO_NSK_IJLi5ELi6EEEENSK_IJLi7EEEEEEENSK_IJLi5ELi7ELi6EEEElEESW_NS3_INS4_IJSA_SC_SC_EEENS4_IJSL_SM_SN_EEENS4_IJSR_SP_SO_EEENSK_IJLi3ELi4EEEElEENS_16tensor_operation12element_wise11PassThroughES14_S14_Li64ELi128ELi64ELi16ELi16ELi2ELi2ELi4ENSK_IJLi4ELi32ELi1EEEENSK_IJLi1ELi0ELi2EEEES16_Li2ELi2ELi2ELb0ELb1ELb1ES15_S16_S16_Li2ELi2ELi2ELb0ELb1ELb1ELi1ELi1ENSK_IJLi1ELi32ELi1ELi4EEEELi8ELi1ELNS_13LoopSchedulerE0ELNS_15PipelineVersionE0EEEaaaSW_SW_NS3_INS4_IJSA_SC_SC_NSD_INS4_IJiNS7_IiLi64EEEEEELb0EEENSD_INS4_IJiNS7_IiLi128EEEEEELb0EEEEEENS4_IJSL_SM_SN_SP_SO_EEENS4_IJSR_SP_SO_SS_NSK_IJLi7ELi8EEEEEEENSK_IJLi5ELi6ELi7ELi8EEEElEES14_S14_S14_NS_31BlockToCTileMap_M00_N0_M01AdaptILi64ELi128ES11_iEELb1EEEvPKT0_PKT1_PT2_T3_T4_T5_T6_T7_T8_T9_, .Lfunc_end1-_ZN2ck16kernel_gemm_wmmaINS_17GridwiseGemm_WmmaILi128EaaiiaLNS_25InMemoryDataOperationEnumE0ENS_16TensorDescriptorINS_5TupleIJNS_5EmbedINS4_IJiiEEENS4_IJiNS_17integral_constantIiLi1EEEEEELb0EEENS_8RightPadIiiLb0EEESC_NS_7UnMergeINS4_IJiNS7_IiLi2EEEEEELb0EEENS_11PassThroughIiEEEEENS4_IJNS_8SequenceIJLi0EEEENSK_IJLi1EEEENSK_IJLi2EEEENSK_IJLi4EEEENSK_IJLi3EEEEEEENS4_IJNSK_IJLi1ELi2EEEESP_SO_NSK_IJLi5ELi6EEEENSK_IJLi7EEEEEEENSK_IJLi5ELi7ELi6EEEElEESW_NS3_INS4_IJSA_SC_SC_EEENS4_IJSL_SM_SN_EEENS4_IJSR_SP_SO_EEENSK_IJLi3ELi4EEEElEENS_16tensor_operation12element_wise11PassThroughES14_S14_Li64ELi128ELi64ELi16ELi16ELi2ELi2ELi4ENSK_IJLi4ELi32ELi1EEEENSK_IJLi1ELi0ELi2EEEES16_Li2ELi2ELi2ELb0ELb1ELb1ES15_S16_S16_Li2ELi2ELi2ELb0ELb1ELb1ELi1ELi1ENSK_IJLi1ELi32ELi1ELi4EEEELi8ELi1ELNS_13LoopSchedulerE0ELNS_15PipelineVersionE0EEEaaaSW_SW_NS3_INS4_IJSA_SC_SC_NSD_INS4_IJiNS7_IiLi64EEEEEELb0EEENSD_INS4_IJiNS7_IiLi128EEEEEELb0EEEEEENS4_IJSL_SM_SN_SP_SO_EEENS4_IJSR_SP_SO_SS_NSK_IJLi7ELi8EEEEEEENSK_IJLi5ELi6ELi7ELi8EEEElEES14_S14_S14_NS_31BlockToCTileMap_M00_N0_M01AdaptILi64ELi128ES11_iEELb1EEEvPKT0_PKT1_PT2_T3_T4_T5_T6_T7_T8_T9_
                                        ; -- End function
	.set _ZN2ck16kernel_gemm_wmmaINS_17GridwiseGemm_WmmaILi128EaaiiaLNS_25InMemoryDataOperationEnumE0ENS_16TensorDescriptorINS_5TupleIJNS_5EmbedINS4_IJiiEEENS4_IJiNS_17integral_constantIiLi1EEEEEELb0EEENS_8RightPadIiiLb0EEESC_NS_7UnMergeINS4_IJiNS7_IiLi2EEEEEELb0EEENS_11PassThroughIiEEEEENS4_IJNS_8SequenceIJLi0EEEENSK_IJLi1EEEENSK_IJLi2EEEENSK_IJLi4EEEENSK_IJLi3EEEEEEENS4_IJNSK_IJLi1ELi2EEEESP_SO_NSK_IJLi5ELi6EEEENSK_IJLi7EEEEEEENSK_IJLi5ELi7ELi6EEEElEESW_NS3_INS4_IJSA_SC_SC_EEENS4_IJSL_SM_SN_EEENS4_IJSR_SP_SO_EEENSK_IJLi3ELi4EEEElEENS_16tensor_operation12element_wise11PassThroughES14_S14_Li64ELi128ELi64ELi16ELi16ELi2ELi2ELi4ENSK_IJLi4ELi32ELi1EEEENSK_IJLi1ELi0ELi2EEEES16_Li2ELi2ELi2ELb0ELb1ELb1ES15_S16_S16_Li2ELi2ELi2ELb0ELb1ELb1ELi1ELi1ENSK_IJLi1ELi32ELi1ELi4EEEELi8ELi1ELNS_13LoopSchedulerE0ELNS_15PipelineVersionE0EEEaaaSW_SW_NS3_INS4_IJSA_SC_SC_NSD_INS4_IJiNS7_IiLi64EEEEEELb0EEENSD_INS4_IJiNS7_IiLi128EEEEEELb0EEEEEENS4_IJSL_SM_SN_SP_SO_EEENS4_IJSR_SP_SO_SS_NSK_IJLi7ELi8EEEEEEENSK_IJLi5ELi6ELi7ELi8EEEElEES14_S14_S14_NS_31BlockToCTileMap_M00_N0_M01AdaptILi64ELi128ES11_iEELb1EEEvPKT0_PKT1_PT2_T3_T4_T5_T6_T7_T8_T9_.num_vgpr, 140
	.set _ZN2ck16kernel_gemm_wmmaINS_17GridwiseGemm_WmmaILi128EaaiiaLNS_25InMemoryDataOperationEnumE0ENS_16TensorDescriptorINS_5TupleIJNS_5EmbedINS4_IJiiEEENS4_IJiNS_17integral_constantIiLi1EEEEEELb0EEENS_8RightPadIiiLb0EEESC_NS_7UnMergeINS4_IJiNS7_IiLi2EEEEEELb0EEENS_11PassThroughIiEEEEENS4_IJNS_8SequenceIJLi0EEEENSK_IJLi1EEEENSK_IJLi2EEEENSK_IJLi4EEEENSK_IJLi3EEEEEEENS4_IJNSK_IJLi1ELi2EEEESP_SO_NSK_IJLi5ELi6EEEENSK_IJLi7EEEEEEENSK_IJLi5ELi7ELi6EEEElEESW_NS3_INS4_IJSA_SC_SC_EEENS4_IJSL_SM_SN_EEENS4_IJSR_SP_SO_EEENSK_IJLi3ELi4EEEElEENS_16tensor_operation12element_wise11PassThroughES14_S14_Li64ELi128ELi64ELi16ELi16ELi2ELi2ELi4ENSK_IJLi4ELi32ELi1EEEENSK_IJLi1ELi0ELi2EEEES16_Li2ELi2ELi2ELb0ELb1ELb1ES15_S16_S16_Li2ELi2ELi2ELb0ELb1ELb1ELi1ELi1ENSK_IJLi1ELi32ELi1ELi4EEEELi8ELi1ELNS_13LoopSchedulerE0ELNS_15PipelineVersionE0EEEaaaSW_SW_NS3_INS4_IJSA_SC_SC_NSD_INS4_IJiNS7_IiLi64EEEEEELb0EEENSD_INS4_IJiNS7_IiLi128EEEEEELb0EEEEEENS4_IJSL_SM_SN_SP_SO_EEENS4_IJSR_SP_SO_SS_NSK_IJLi7ELi8EEEEEEENSK_IJLi5ELi6ELi7ELi8EEEElEES14_S14_S14_NS_31BlockToCTileMap_M00_N0_M01AdaptILi64ELi128ES11_iEELb1EEEvPKT0_PKT1_PT2_T3_T4_T5_T6_T7_T8_T9_.num_agpr, 0
	.set _ZN2ck16kernel_gemm_wmmaINS_17GridwiseGemm_WmmaILi128EaaiiaLNS_25InMemoryDataOperationEnumE0ENS_16TensorDescriptorINS_5TupleIJNS_5EmbedINS4_IJiiEEENS4_IJiNS_17integral_constantIiLi1EEEEEELb0EEENS_8RightPadIiiLb0EEESC_NS_7UnMergeINS4_IJiNS7_IiLi2EEEEEELb0EEENS_11PassThroughIiEEEEENS4_IJNS_8SequenceIJLi0EEEENSK_IJLi1EEEENSK_IJLi2EEEENSK_IJLi4EEEENSK_IJLi3EEEEEEENS4_IJNSK_IJLi1ELi2EEEESP_SO_NSK_IJLi5ELi6EEEENSK_IJLi7EEEEEEENSK_IJLi5ELi7ELi6EEEElEESW_NS3_INS4_IJSA_SC_SC_EEENS4_IJSL_SM_SN_EEENS4_IJSR_SP_SO_EEENSK_IJLi3ELi4EEEElEENS_16tensor_operation12element_wise11PassThroughES14_S14_Li64ELi128ELi64ELi16ELi16ELi2ELi2ELi4ENSK_IJLi4ELi32ELi1EEEENSK_IJLi1ELi0ELi2EEEES16_Li2ELi2ELi2ELb0ELb1ELb1ES15_S16_S16_Li2ELi2ELi2ELb0ELb1ELb1ELi1ELi1ENSK_IJLi1ELi32ELi1ELi4EEEELi8ELi1ELNS_13LoopSchedulerE0ELNS_15PipelineVersionE0EEEaaaSW_SW_NS3_INS4_IJSA_SC_SC_NSD_INS4_IJiNS7_IiLi64EEEEEELb0EEENSD_INS4_IJiNS7_IiLi128EEEEEELb0EEEEEENS4_IJSL_SM_SN_SP_SO_EEENS4_IJSR_SP_SO_SS_NSK_IJLi7ELi8EEEEEEENSK_IJLi5ELi6ELi7ELi8EEEElEES14_S14_S14_NS_31BlockToCTileMap_M00_N0_M01AdaptILi64ELi128ES11_iEELb1EEEvPKT0_PKT1_PT2_T3_T4_T5_T6_T7_T8_T9_.numbered_sgpr, 57
	.set _ZN2ck16kernel_gemm_wmmaINS_17GridwiseGemm_WmmaILi128EaaiiaLNS_25InMemoryDataOperationEnumE0ENS_16TensorDescriptorINS_5TupleIJNS_5EmbedINS4_IJiiEEENS4_IJiNS_17integral_constantIiLi1EEEEEELb0EEENS_8RightPadIiiLb0EEESC_NS_7UnMergeINS4_IJiNS7_IiLi2EEEEEELb0EEENS_11PassThroughIiEEEEENS4_IJNS_8SequenceIJLi0EEEENSK_IJLi1EEEENSK_IJLi2EEEENSK_IJLi4EEEENSK_IJLi3EEEEEEENS4_IJNSK_IJLi1ELi2EEEESP_SO_NSK_IJLi5ELi6EEEENSK_IJLi7EEEEEEENSK_IJLi5ELi7ELi6EEEElEESW_NS3_INS4_IJSA_SC_SC_EEENS4_IJSL_SM_SN_EEENS4_IJSR_SP_SO_EEENSK_IJLi3ELi4EEEElEENS_16tensor_operation12element_wise11PassThroughES14_S14_Li64ELi128ELi64ELi16ELi16ELi2ELi2ELi4ENSK_IJLi4ELi32ELi1EEEENSK_IJLi1ELi0ELi2EEEES16_Li2ELi2ELi2ELb0ELb1ELb1ES15_S16_S16_Li2ELi2ELi2ELb0ELb1ELb1ELi1ELi1ENSK_IJLi1ELi32ELi1ELi4EEEELi8ELi1ELNS_13LoopSchedulerE0ELNS_15PipelineVersionE0EEEaaaSW_SW_NS3_INS4_IJSA_SC_SC_NSD_INS4_IJiNS7_IiLi64EEEEEELb0EEENSD_INS4_IJiNS7_IiLi128EEEEEELb0EEEEEENS4_IJSL_SM_SN_SP_SO_EEENS4_IJSR_SP_SO_SS_NSK_IJLi7ELi8EEEEEEENSK_IJLi5ELi6ELi7ELi8EEEElEES14_S14_S14_NS_31BlockToCTileMap_M00_N0_M01AdaptILi64ELi128ES11_iEELb1EEEvPKT0_PKT1_PT2_T3_T4_T5_T6_T7_T8_T9_.num_named_barrier, 0
	.set _ZN2ck16kernel_gemm_wmmaINS_17GridwiseGemm_WmmaILi128EaaiiaLNS_25InMemoryDataOperationEnumE0ENS_16TensorDescriptorINS_5TupleIJNS_5EmbedINS4_IJiiEEENS4_IJiNS_17integral_constantIiLi1EEEEEELb0EEENS_8RightPadIiiLb0EEESC_NS_7UnMergeINS4_IJiNS7_IiLi2EEEEEELb0EEENS_11PassThroughIiEEEEENS4_IJNS_8SequenceIJLi0EEEENSK_IJLi1EEEENSK_IJLi2EEEENSK_IJLi4EEEENSK_IJLi3EEEEEEENS4_IJNSK_IJLi1ELi2EEEESP_SO_NSK_IJLi5ELi6EEEENSK_IJLi7EEEEEEENSK_IJLi5ELi7ELi6EEEElEESW_NS3_INS4_IJSA_SC_SC_EEENS4_IJSL_SM_SN_EEENS4_IJSR_SP_SO_EEENSK_IJLi3ELi4EEEElEENS_16tensor_operation12element_wise11PassThroughES14_S14_Li64ELi128ELi64ELi16ELi16ELi2ELi2ELi4ENSK_IJLi4ELi32ELi1EEEENSK_IJLi1ELi0ELi2EEEES16_Li2ELi2ELi2ELb0ELb1ELb1ES15_S16_S16_Li2ELi2ELi2ELb0ELb1ELb1ELi1ELi1ENSK_IJLi1ELi32ELi1ELi4EEEELi8ELi1ELNS_13LoopSchedulerE0ELNS_15PipelineVersionE0EEEaaaSW_SW_NS3_INS4_IJSA_SC_SC_NSD_INS4_IJiNS7_IiLi64EEEEEELb0EEENSD_INS4_IJiNS7_IiLi128EEEEEELb0EEEEEENS4_IJSL_SM_SN_SP_SO_EEENS4_IJSR_SP_SO_SS_NSK_IJLi7ELi8EEEEEEENSK_IJLi5ELi6ELi7ELi8EEEElEES14_S14_S14_NS_31BlockToCTileMap_M00_N0_M01AdaptILi64ELi128ES11_iEELb1EEEvPKT0_PKT1_PT2_T3_T4_T5_T6_T7_T8_T9_.private_seg_size, 0
	.set _ZN2ck16kernel_gemm_wmmaINS_17GridwiseGemm_WmmaILi128EaaiiaLNS_25InMemoryDataOperationEnumE0ENS_16TensorDescriptorINS_5TupleIJNS_5EmbedINS4_IJiiEEENS4_IJiNS_17integral_constantIiLi1EEEEEELb0EEENS_8RightPadIiiLb0EEESC_NS_7UnMergeINS4_IJiNS7_IiLi2EEEEEELb0EEENS_11PassThroughIiEEEEENS4_IJNS_8SequenceIJLi0EEEENSK_IJLi1EEEENSK_IJLi2EEEENSK_IJLi4EEEENSK_IJLi3EEEEEEENS4_IJNSK_IJLi1ELi2EEEESP_SO_NSK_IJLi5ELi6EEEENSK_IJLi7EEEEEEENSK_IJLi5ELi7ELi6EEEElEESW_NS3_INS4_IJSA_SC_SC_EEENS4_IJSL_SM_SN_EEENS4_IJSR_SP_SO_EEENSK_IJLi3ELi4EEEElEENS_16tensor_operation12element_wise11PassThroughES14_S14_Li64ELi128ELi64ELi16ELi16ELi2ELi2ELi4ENSK_IJLi4ELi32ELi1EEEENSK_IJLi1ELi0ELi2EEEES16_Li2ELi2ELi2ELb0ELb1ELb1ES15_S16_S16_Li2ELi2ELi2ELb0ELb1ELb1ELi1ELi1ENSK_IJLi1ELi32ELi1ELi4EEEELi8ELi1ELNS_13LoopSchedulerE0ELNS_15PipelineVersionE0EEEaaaSW_SW_NS3_INS4_IJSA_SC_SC_NSD_INS4_IJiNS7_IiLi64EEEEEELb0EEENSD_INS4_IJiNS7_IiLi128EEEEEELb0EEEEEENS4_IJSL_SM_SN_SP_SO_EEENS4_IJSR_SP_SO_SS_NSK_IJLi7ELi8EEEEEEENSK_IJLi5ELi6ELi7ELi8EEEElEES14_S14_S14_NS_31BlockToCTileMap_M00_N0_M01AdaptILi64ELi128ES11_iEELb1EEEvPKT0_PKT1_PT2_T3_T4_T5_T6_T7_T8_T9_.uses_vcc, 1
	.set _ZN2ck16kernel_gemm_wmmaINS_17GridwiseGemm_WmmaILi128EaaiiaLNS_25InMemoryDataOperationEnumE0ENS_16TensorDescriptorINS_5TupleIJNS_5EmbedINS4_IJiiEEENS4_IJiNS_17integral_constantIiLi1EEEEEELb0EEENS_8RightPadIiiLb0EEESC_NS_7UnMergeINS4_IJiNS7_IiLi2EEEEEELb0EEENS_11PassThroughIiEEEEENS4_IJNS_8SequenceIJLi0EEEENSK_IJLi1EEEENSK_IJLi2EEEENSK_IJLi4EEEENSK_IJLi3EEEEEEENS4_IJNSK_IJLi1ELi2EEEESP_SO_NSK_IJLi5ELi6EEEENSK_IJLi7EEEEEEENSK_IJLi5ELi7ELi6EEEElEESW_NS3_INS4_IJSA_SC_SC_EEENS4_IJSL_SM_SN_EEENS4_IJSR_SP_SO_EEENSK_IJLi3ELi4EEEElEENS_16tensor_operation12element_wise11PassThroughES14_S14_Li64ELi128ELi64ELi16ELi16ELi2ELi2ELi4ENSK_IJLi4ELi32ELi1EEEENSK_IJLi1ELi0ELi2EEEES16_Li2ELi2ELi2ELb0ELb1ELb1ES15_S16_S16_Li2ELi2ELi2ELb0ELb1ELb1ELi1ELi1ENSK_IJLi1ELi32ELi1ELi4EEEELi8ELi1ELNS_13LoopSchedulerE0ELNS_15PipelineVersionE0EEEaaaSW_SW_NS3_INS4_IJSA_SC_SC_NSD_INS4_IJiNS7_IiLi64EEEEEELb0EEENSD_INS4_IJiNS7_IiLi128EEEEEELb0EEEEEENS4_IJSL_SM_SN_SP_SO_EEENS4_IJSR_SP_SO_SS_NSK_IJLi7ELi8EEEEEEENSK_IJLi5ELi6ELi7ELi8EEEElEES14_S14_S14_NS_31BlockToCTileMap_M00_N0_M01AdaptILi64ELi128ES11_iEELb1EEEvPKT0_PKT1_PT2_T3_T4_T5_T6_T7_T8_T9_.uses_flat_scratch, 0
	.set _ZN2ck16kernel_gemm_wmmaINS_17GridwiseGemm_WmmaILi128EaaiiaLNS_25InMemoryDataOperationEnumE0ENS_16TensorDescriptorINS_5TupleIJNS_5EmbedINS4_IJiiEEENS4_IJiNS_17integral_constantIiLi1EEEEEELb0EEENS_8RightPadIiiLb0EEESC_NS_7UnMergeINS4_IJiNS7_IiLi2EEEEEELb0EEENS_11PassThroughIiEEEEENS4_IJNS_8SequenceIJLi0EEEENSK_IJLi1EEEENSK_IJLi2EEEENSK_IJLi4EEEENSK_IJLi3EEEEEEENS4_IJNSK_IJLi1ELi2EEEESP_SO_NSK_IJLi5ELi6EEEENSK_IJLi7EEEEEEENSK_IJLi5ELi7ELi6EEEElEESW_NS3_INS4_IJSA_SC_SC_EEENS4_IJSL_SM_SN_EEENS4_IJSR_SP_SO_EEENSK_IJLi3ELi4EEEElEENS_16tensor_operation12element_wise11PassThroughES14_S14_Li64ELi128ELi64ELi16ELi16ELi2ELi2ELi4ENSK_IJLi4ELi32ELi1EEEENSK_IJLi1ELi0ELi2EEEES16_Li2ELi2ELi2ELb0ELb1ELb1ES15_S16_S16_Li2ELi2ELi2ELb0ELb1ELb1ELi1ELi1ENSK_IJLi1ELi32ELi1ELi4EEEELi8ELi1ELNS_13LoopSchedulerE0ELNS_15PipelineVersionE0EEEaaaSW_SW_NS3_INS4_IJSA_SC_SC_NSD_INS4_IJiNS7_IiLi64EEEEEELb0EEENSD_INS4_IJiNS7_IiLi128EEEEEELb0EEEEEENS4_IJSL_SM_SN_SP_SO_EEENS4_IJSR_SP_SO_SS_NSK_IJLi7ELi8EEEEEEENSK_IJLi5ELi6ELi7ELi8EEEElEES14_S14_S14_NS_31BlockToCTileMap_M00_N0_M01AdaptILi64ELi128ES11_iEELb1EEEvPKT0_PKT1_PT2_T3_T4_T5_T6_T7_T8_T9_.has_dyn_sized_stack, 0
	.set _ZN2ck16kernel_gemm_wmmaINS_17GridwiseGemm_WmmaILi128EaaiiaLNS_25InMemoryDataOperationEnumE0ENS_16TensorDescriptorINS_5TupleIJNS_5EmbedINS4_IJiiEEENS4_IJiNS_17integral_constantIiLi1EEEEEELb0EEENS_8RightPadIiiLb0EEESC_NS_7UnMergeINS4_IJiNS7_IiLi2EEEEEELb0EEENS_11PassThroughIiEEEEENS4_IJNS_8SequenceIJLi0EEEENSK_IJLi1EEEENSK_IJLi2EEEENSK_IJLi4EEEENSK_IJLi3EEEEEEENS4_IJNSK_IJLi1ELi2EEEESP_SO_NSK_IJLi5ELi6EEEENSK_IJLi7EEEEEEENSK_IJLi5ELi7ELi6EEEElEESW_NS3_INS4_IJSA_SC_SC_EEENS4_IJSL_SM_SN_EEENS4_IJSR_SP_SO_EEENSK_IJLi3ELi4EEEElEENS_16tensor_operation12element_wise11PassThroughES14_S14_Li64ELi128ELi64ELi16ELi16ELi2ELi2ELi4ENSK_IJLi4ELi32ELi1EEEENSK_IJLi1ELi0ELi2EEEES16_Li2ELi2ELi2ELb0ELb1ELb1ES15_S16_S16_Li2ELi2ELi2ELb0ELb1ELb1ELi1ELi1ENSK_IJLi1ELi32ELi1ELi4EEEELi8ELi1ELNS_13LoopSchedulerE0ELNS_15PipelineVersionE0EEEaaaSW_SW_NS3_INS4_IJSA_SC_SC_NSD_INS4_IJiNS7_IiLi64EEEEEELb0EEENSD_INS4_IJiNS7_IiLi128EEEEEELb0EEEEEENS4_IJSL_SM_SN_SP_SO_EEENS4_IJSR_SP_SO_SS_NSK_IJLi7ELi8EEEEEEENSK_IJLi5ELi6ELi7ELi8EEEElEES14_S14_S14_NS_31BlockToCTileMap_M00_N0_M01AdaptILi64ELi128ES11_iEELb1EEEvPKT0_PKT1_PT2_T3_T4_T5_T6_T7_T8_T9_.has_recursion, 0
	.set _ZN2ck16kernel_gemm_wmmaINS_17GridwiseGemm_WmmaILi128EaaiiaLNS_25InMemoryDataOperationEnumE0ENS_16TensorDescriptorINS_5TupleIJNS_5EmbedINS4_IJiiEEENS4_IJiNS_17integral_constantIiLi1EEEEEELb0EEENS_8RightPadIiiLb0EEESC_NS_7UnMergeINS4_IJiNS7_IiLi2EEEEEELb0EEENS_11PassThroughIiEEEEENS4_IJNS_8SequenceIJLi0EEEENSK_IJLi1EEEENSK_IJLi2EEEENSK_IJLi4EEEENSK_IJLi3EEEEEEENS4_IJNSK_IJLi1ELi2EEEESP_SO_NSK_IJLi5ELi6EEEENSK_IJLi7EEEEEEENSK_IJLi5ELi7ELi6EEEElEESW_NS3_INS4_IJSA_SC_SC_EEENS4_IJSL_SM_SN_EEENS4_IJSR_SP_SO_EEENSK_IJLi3ELi4EEEElEENS_16tensor_operation12element_wise11PassThroughES14_S14_Li64ELi128ELi64ELi16ELi16ELi2ELi2ELi4ENSK_IJLi4ELi32ELi1EEEENSK_IJLi1ELi0ELi2EEEES16_Li2ELi2ELi2ELb0ELb1ELb1ES15_S16_S16_Li2ELi2ELi2ELb0ELb1ELb1ELi1ELi1ENSK_IJLi1ELi32ELi1ELi4EEEELi8ELi1ELNS_13LoopSchedulerE0ELNS_15PipelineVersionE0EEEaaaSW_SW_NS3_INS4_IJSA_SC_SC_NSD_INS4_IJiNS7_IiLi64EEEEEELb0EEENSD_INS4_IJiNS7_IiLi128EEEEEELb0EEEEEENS4_IJSL_SM_SN_SP_SO_EEENS4_IJSR_SP_SO_SS_NSK_IJLi7ELi8EEEEEEENSK_IJLi5ELi6ELi7ELi8EEEElEES14_S14_S14_NS_31BlockToCTileMap_M00_N0_M01AdaptILi64ELi128ES11_iEELb1EEEvPKT0_PKT1_PT2_T3_T4_T5_T6_T7_T8_T9_.has_indirect_call, 0
	.section	.AMDGPU.csdata,"",@progbits
; Kernel info:
; codeLenInByte = 11824
; TotalNumSgprs: 59
; NumVgprs: 140
; ScratchSize: 0
; MemoryBound: 0
; FloatMode: 240
; IeeeMode: 1
; LDSByteSize: 12412 bytes/workgroup (compile time only)
; SGPRBlocks: 0
; VGPRBlocks: 17
; NumSGPRsForWavesPerEU: 59
; NumVGPRsForWavesPerEU: 140
; Occupancy: 10
; WaveLimiterHint : 0
; COMPUTE_PGM_RSRC2:SCRATCH_EN: 0
; COMPUTE_PGM_RSRC2:USER_SGPR: 2
; COMPUTE_PGM_RSRC2:TRAP_HANDLER: 0
; COMPUTE_PGM_RSRC2:TGID_X_EN: 1
; COMPUTE_PGM_RSRC2:TGID_Y_EN: 0
; COMPUTE_PGM_RSRC2:TGID_Z_EN: 0
; COMPUTE_PGM_RSRC2:TIDIG_COMP_CNT: 0
	.section	.text._ZN2ck16kernel_gemm_wmmaINS_17GridwiseGemm_WmmaILi128EaaiiaLNS_25InMemoryDataOperationEnumE0ENS_16TensorDescriptorINS_5TupleIJNS_5EmbedINS4_IJiiEEENS4_IJiNS_17integral_constantIiLi1EEEEEELb0EEENS_8RightPadIiiLb0EEESC_NS_7UnMergeINS4_IJiNS7_IiLi2EEEEEELb0EEENS_11PassThroughIiEEEEENS4_IJNS_8SequenceIJLi0EEEENSK_IJLi1EEEENSK_IJLi2EEEENSK_IJLi4EEEENSK_IJLi3EEEEEEENS4_IJNSK_IJLi1ELi2EEEESP_SO_NSK_IJLi5ELi6EEEENSK_IJLi7EEEEEEENSK_IJLi5ELi7ELi6EEEElEESW_NS3_INS4_IJSA_SC_SC_EEENS4_IJSL_SM_SN_EEENS4_IJSR_SP_SO_EEENSK_IJLi3ELi4EEEElEENS_16tensor_operation12element_wise11PassThroughES14_S14_Li64ELi128ELi64ELi16ELi16ELi2ELi2ELi4ENSK_IJLi4ELi32ELi1EEEENSK_IJLi1ELi0ELi2EEEES16_Li2ELi2ELi2ELb0ELb1ELb1ES15_S16_S16_Li2ELi2ELi2ELb0ELb1ELb1ELi1ELi1ENSK_IJLi1ELi32ELi1ELi4EEEELi8ELi1ELNS_13LoopSchedulerE0ELNS_15PipelineVersionE0EEEaaaSW_SW_NS3_INS4_IJSA_SC_SC_NSD_INS4_IJiNS7_IiLi64EEEEEELb0EEENSD_INS4_IJiNS7_IiLi128EEEEEELb0EEEEEENS4_IJSL_SM_SN_SP_SO_EEENS4_IJSR_SP_SO_SS_NSK_IJLi7ELi8EEEEEEENSK_IJLi5ELi6ELi7ELi8EEEElEES14_S14_S14_NS_31BlockToCTileMap_M00_N0_M01AdaptILi64ELi128ES11_iEELb0EEEvPKT0_PKT1_PT2_T3_T4_T5_T6_T7_T8_T9_,"axG",@progbits,_ZN2ck16kernel_gemm_wmmaINS_17GridwiseGemm_WmmaILi128EaaiiaLNS_25InMemoryDataOperationEnumE0ENS_16TensorDescriptorINS_5TupleIJNS_5EmbedINS4_IJiiEEENS4_IJiNS_17integral_constantIiLi1EEEEEELb0EEENS_8RightPadIiiLb0EEESC_NS_7UnMergeINS4_IJiNS7_IiLi2EEEEEELb0EEENS_11PassThroughIiEEEEENS4_IJNS_8SequenceIJLi0EEEENSK_IJLi1EEEENSK_IJLi2EEEENSK_IJLi4EEEENSK_IJLi3EEEEEEENS4_IJNSK_IJLi1ELi2EEEESP_SO_NSK_IJLi5ELi6EEEENSK_IJLi7EEEEEEENSK_IJLi5ELi7ELi6EEEElEESW_NS3_INS4_IJSA_SC_SC_EEENS4_IJSL_SM_SN_EEENS4_IJSR_SP_SO_EEENSK_IJLi3ELi4EEEElEENS_16tensor_operation12element_wise11PassThroughES14_S14_Li64ELi128ELi64ELi16ELi16ELi2ELi2ELi4ENSK_IJLi4ELi32ELi1EEEENSK_IJLi1ELi0ELi2EEEES16_Li2ELi2ELi2ELb0ELb1ELb1ES15_S16_S16_Li2ELi2ELi2ELb0ELb1ELb1ELi1ELi1ENSK_IJLi1ELi32ELi1ELi4EEEELi8ELi1ELNS_13LoopSchedulerE0ELNS_15PipelineVersionE0EEEaaaSW_SW_NS3_INS4_IJSA_SC_SC_NSD_INS4_IJiNS7_IiLi64EEEEEELb0EEENSD_INS4_IJiNS7_IiLi128EEEEEELb0EEEEEENS4_IJSL_SM_SN_SP_SO_EEENS4_IJSR_SP_SO_SS_NSK_IJLi7ELi8EEEEEEENSK_IJLi5ELi6ELi7ELi8EEEElEES14_S14_S14_NS_31BlockToCTileMap_M00_N0_M01AdaptILi64ELi128ES11_iEELb0EEEvPKT0_PKT1_PT2_T3_T4_T5_T6_T7_T8_T9_,comdat
	.protected	_ZN2ck16kernel_gemm_wmmaINS_17GridwiseGemm_WmmaILi128EaaiiaLNS_25InMemoryDataOperationEnumE0ENS_16TensorDescriptorINS_5TupleIJNS_5EmbedINS4_IJiiEEENS4_IJiNS_17integral_constantIiLi1EEEEEELb0EEENS_8RightPadIiiLb0EEESC_NS_7UnMergeINS4_IJiNS7_IiLi2EEEEEELb0EEENS_11PassThroughIiEEEEENS4_IJNS_8SequenceIJLi0EEEENSK_IJLi1EEEENSK_IJLi2EEEENSK_IJLi4EEEENSK_IJLi3EEEEEEENS4_IJNSK_IJLi1ELi2EEEESP_SO_NSK_IJLi5ELi6EEEENSK_IJLi7EEEEEEENSK_IJLi5ELi7ELi6EEEElEESW_NS3_INS4_IJSA_SC_SC_EEENS4_IJSL_SM_SN_EEENS4_IJSR_SP_SO_EEENSK_IJLi3ELi4EEEElEENS_16tensor_operation12element_wise11PassThroughES14_S14_Li64ELi128ELi64ELi16ELi16ELi2ELi2ELi4ENSK_IJLi4ELi32ELi1EEEENSK_IJLi1ELi0ELi2EEEES16_Li2ELi2ELi2ELb0ELb1ELb1ES15_S16_S16_Li2ELi2ELi2ELb0ELb1ELb1ELi1ELi1ENSK_IJLi1ELi32ELi1ELi4EEEELi8ELi1ELNS_13LoopSchedulerE0ELNS_15PipelineVersionE0EEEaaaSW_SW_NS3_INS4_IJSA_SC_SC_NSD_INS4_IJiNS7_IiLi64EEEEEELb0EEENSD_INS4_IJiNS7_IiLi128EEEEEELb0EEEEEENS4_IJSL_SM_SN_SP_SO_EEENS4_IJSR_SP_SO_SS_NSK_IJLi7ELi8EEEEEEENSK_IJLi5ELi6ELi7ELi8EEEElEES14_S14_S14_NS_31BlockToCTileMap_M00_N0_M01AdaptILi64ELi128ES11_iEELb0EEEvPKT0_PKT1_PT2_T3_T4_T5_T6_T7_T8_T9_ ; -- Begin function _ZN2ck16kernel_gemm_wmmaINS_17GridwiseGemm_WmmaILi128EaaiiaLNS_25InMemoryDataOperationEnumE0ENS_16TensorDescriptorINS_5TupleIJNS_5EmbedINS4_IJiiEEENS4_IJiNS_17integral_constantIiLi1EEEEEELb0EEENS_8RightPadIiiLb0EEESC_NS_7UnMergeINS4_IJiNS7_IiLi2EEEEEELb0EEENS_11PassThroughIiEEEEENS4_IJNS_8SequenceIJLi0EEEENSK_IJLi1EEEENSK_IJLi2EEEENSK_IJLi4EEEENSK_IJLi3EEEEEEENS4_IJNSK_IJLi1ELi2EEEESP_SO_NSK_IJLi5ELi6EEEENSK_IJLi7EEEEEEENSK_IJLi5ELi7ELi6EEEElEESW_NS3_INS4_IJSA_SC_SC_EEENS4_IJSL_SM_SN_EEENS4_IJSR_SP_SO_EEENSK_IJLi3ELi4EEEElEENS_16tensor_operation12element_wise11PassThroughES14_S14_Li64ELi128ELi64ELi16ELi16ELi2ELi2ELi4ENSK_IJLi4ELi32ELi1EEEENSK_IJLi1ELi0ELi2EEEES16_Li2ELi2ELi2ELb0ELb1ELb1ES15_S16_S16_Li2ELi2ELi2ELb0ELb1ELb1ELi1ELi1ENSK_IJLi1ELi32ELi1ELi4EEEELi8ELi1ELNS_13LoopSchedulerE0ELNS_15PipelineVersionE0EEEaaaSW_SW_NS3_INS4_IJSA_SC_SC_NSD_INS4_IJiNS7_IiLi64EEEEEELb0EEENSD_INS4_IJiNS7_IiLi128EEEEEELb0EEEEEENS4_IJSL_SM_SN_SP_SO_EEENS4_IJSR_SP_SO_SS_NSK_IJLi7ELi8EEEEEEENSK_IJLi5ELi6ELi7ELi8EEEElEES14_S14_S14_NS_31BlockToCTileMap_M00_N0_M01AdaptILi64ELi128ES11_iEELb0EEEvPKT0_PKT1_PT2_T3_T4_T5_T6_T7_T8_T9_
	.globl	_ZN2ck16kernel_gemm_wmmaINS_17GridwiseGemm_WmmaILi128EaaiiaLNS_25InMemoryDataOperationEnumE0ENS_16TensorDescriptorINS_5TupleIJNS_5EmbedINS4_IJiiEEENS4_IJiNS_17integral_constantIiLi1EEEEEELb0EEENS_8RightPadIiiLb0EEESC_NS_7UnMergeINS4_IJiNS7_IiLi2EEEEEELb0EEENS_11PassThroughIiEEEEENS4_IJNS_8SequenceIJLi0EEEENSK_IJLi1EEEENSK_IJLi2EEEENSK_IJLi4EEEENSK_IJLi3EEEEEEENS4_IJNSK_IJLi1ELi2EEEESP_SO_NSK_IJLi5ELi6EEEENSK_IJLi7EEEEEEENSK_IJLi5ELi7ELi6EEEElEESW_NS3_INS4_IJSA_SC_SC_EEENS4_IJSL_SM_SN_EEENS4_IJSR_SP_SO_EEENSK_IJLi3ELi4EEEElEENS_16tensor_operation12element_wise11PassThroughES14_S14_Li64ELi128ELi64ELi16ELi16ELi2ELi2ELi4ENSK_IJLi4ELi32ELi1EEEENSK_IJLi1ELi0ELi2EEEES16_Li2ELi2ELi2ELb0ELb1ELb1ES15_S16_S16_Li2ELi2ELi2ELb0ELb1ELb1ELi1ELi1ENSK_IJLi1ELi32ELi1ELi4EEEELi8ELi1ELNS_13LoopSchedulerE0ELNS_15PipelineVersionE0EEEaaaSW_SW_NS3_INS4_IJSA_SC_SC_NSD_INS4_IJiNS7_IiLi64EEEEEELb0EEENSD_INS4_IJiNS7_IiLi128EEEEEELb0EEEEEENS4_IJSL_SM_SN_SP_SO_EEENS4_IJSR_SP_SO_SS_NSK_IJLi7ELi8EEEEEEENSK_IJLi5ELi6ELi7ELi8EEEElEES14_S14_S14_NS_31BlockToCTileMap_M00_N0_M01AdaptILi64ELi128ES11_iEELb0EEEvPKT0_PKT1_PT2_T3_T4_T5_T6_T7_T8_T9_
	.p2align	8
	.type	_ZN2ck16kernel_gemm_wmmaINS_17GridwiseGemm_WmmaILi128EaaiiaLNS_25InMemoryDataOperationEnumE0ENS_16TensorDescriptorINS_5TupleIJNS_5EmbedINS4_IJiiEEENS4_IJiNS_17integral_constantIiLi1EEEEEELb0EEENS_8RightPadIiiLb0EEESC_NS_7UnMergeINS4_IJiNS7_IiLi2EEEEEELb0EEENS_11PassThroughIiEEEEENS4_IJNS_8SequenceIJLi0EEEENSK_IJLi1EEEENSK_IJLi2EEEENSK_IJLi4EEEENSK_IJLi3EEEEEEENS4_IJNSK_IJLi1ELi2EEEESP_SO_NSK_IJLi5ELi6EEEENSK_IJLi7EEEEEEENSK_IJLi5ELi7ELi6EEEElEESW_NS3_INS4_IJSA_SC_SC_EEENS4_IJSL_SM_SN_EEENS4_IJSR_SP_SO_EEENSK_IJLi3ELi4EEEElEENS_16tensor_operation12element_wise11PassThroughES14_S14_Li64ELi128ELi64ELi16ELi16ELi2ELi2ELi4ENSK_IJLi4ELi32ELi1EEEENSK_IJLi1ELi0ELi2EEEES16_Li2ELi2ELi2ELb0ELb1ELb1ES15_S16_S16_Li2ELi2ELi2ELb0ELb1ELb1ELi1ELi1ENSK_IJLi1ELi32ELi1ELi4EEEELi8ELi1ELNS_13LoopSchedulerE0ELNS_15PipelineVersionE0EEEaaaSW_SW_NS3_INS4_IJSA_SC_SC_NSD_INS4_IJiNS7_IiLi64EEEEEELb0EEENSD_INS4_IJiNS7_IiLi128EEEEEELb0EEEEEENS4_IJSL_SM_SN_SP_SO_EEENS4_IJSR_SP_SO_SS_NSK_IJLi7ELi8EEEEEEENSK_IJLi5ELi6ELi7ELi8EEEElEES14_S14_S14_NS_31BlockToCTileMap_M00_N0_M01AdaptILi64ELi128ES11_iEELb0EEEvPKT0_PKT1_PT2_T3_T4_T5_T6_T7_T8_T9_,@function
_ZN2ck16kernel_gemm_wmmaINS_17GridwiseGemm_WmmaILi128EaaiiaLNS_25InMemoryDataOperationEnumE0ENS_16TensorDescriptorINS_5TupleIJNS_5EmbedINS4_IJiiEEENS4_IJiNS_17integral_constantIiLi1EEEEEELb0EEENS_8RightPadIiiLb0EEESC_NS_7UnMergeINS4_IJiNS7_IiLi2EEEEEELb0EEENS_11PassThroughIiEEEEENS4_IJNS_8SequenceIJLi0EEEENSK_IJLi1EEEENSK_IJLi2EEEENSK_IJLi4EEEENSK_IJLi3EEEEEEENS4_IJNSK_IJLi1ELi2EEEESP_SO_NSK_IJLi5ELi6EEEENSK_IJLi7EEEEEEENSK_IJLi5ELi7ELi6EEEElEESW_NS3_INS4_IJSA_SC_SC_EEENS4_IJSL_SM_SN_EEENS4_IJSR_SP_SO_EEENSK_IJLi3ELi4EEEElEENS_16tensor_operation12element_wise11PassThroughES14_S14_Li64ELi128ELi64ELi16ELi16ELi2ELi2ELi4ENSK_IJLi4ELi32ELi1EEEENSK_IJLi1ELi0ELi2EEEES16_Li2ELi2ELi2ELb0ELb1ELb1ES15_S16_S16_Li2ELi2ELi2ELb0ELb1ELb1ELi1ELi1ENSK_IJLi1ELi32ELi1ELi4EEEELi8ELi1ELNS_13LoopSchedulerE0ELNS_15PipelineVersionE0EEEaaaSW_SW_NS3_INS4_IJSA_SC_SC_NSD_INS4_IJiNS7_IiLi64EEEEEELb0EEENSD_INS4_IJiNS7_IiLi128EEEEEELb0EEEEEENS4_IJSL_SM_SN_SP_SO_EEENS4_IJSR_SP_SO_SS_NSK_IJLi7ELi8EEEEEEENSK_IJLi5ELi6ELi7ELi8EEEElEES14_S14_S14_NS_31BlockToCTileMap_M00_N0_M01AdaptILi64ELi128ES11_iEELb0EEEvPKT0_PKT1_PT2_T3_T4_T5_T6_T7_T8_T9_: ; @_ZN2ck16kernel_gemm_wmmaINS_17GridwiseGemm_WmmaILi128EaaiiaLNS_25InMemoryDataOperationEnumE0ENS_16TensorDescriptorINS_5TupleIJNS_5EmbedINS4_IJiiEEENS4_IJiNS_17integral_constantIiLi1EEEEEELb0EEENS_8RightPadIiiLb0EEESC_NS_7UnMergeINS4_IJiNS7_IiLi2EEEEEELb0EEENS_11PassThroughIiEEEEENS4_IJNS_8SequenceIJLi0EEEENSK_IJLi1EEEENSK_IJLi2EEEENSK_IJLi4EEEENSK_IJLi3EEEEEEENS4_IJNSK_IJLi1ELi2EEEESP_SO_NSK_IJLi5ELi6EEEENSK_IJLi7EEEEEEENSK_IJLi5ELi7ELi6EEEElEESW_NS3_INS4_IJSA_SC_SC_EEENS4_IJSL_SM_SN_EEENS4_IJSR_SP_SO_EEENSK_IJLi3ELi4EEEElEENS_16tensor_operation12element_wise11PassThroughES14_S14_Li64ELi128ELi64ELi16ELi16ELi2ELi2ELi4ENSK_IJLi4ELi32ELi1EEEENSK_IJLi1ELi0ELi2EEEES16_Li2ELi2ELi2ELb0ELb1ELb1ES15_S16_S16_Li2ELi2ELi2ELb0ELb1ELb1ELi1ELi1ENSK_IJLi1ELi32ELi1ELi4EEEELi8ELi1ELNS_13LoopSchedulerE0ELNS_15PipelineVersionE0EEEaaaSW_SW_NS3_INS4_IJSA_SC_SC_NSD_INS4_IJiNS7_IiLi64EEEEEELb0EEENSD_INS4_IJiNS7_IiLi128EEEEEELb0EEEEEENS4_IJSL_SM_SN_SP_SO_EEENS4_IJSR_SP_SO_SS_NSK_IJLi7ELi8EEEEEEENSK_IJLi5ELi6ELi7ELi8EEEElEES14_S14_S14_NS_31BlockToCTileMap_M00_N0_M01AdaptILi64ELi128ES11_iEELb0EEEvPKT0_PKT1_PT2_T3_T4_T5_T6_T7_T8_T9_
; %bb.0:
	s_load_b96 s[4:6], s[0:1], 0xfc
	s_abs_i32 s9, ttmp9
	v_and_b32_e32 v5, 0xfc, v0
	v_lshrrev_b32_e32 v6, 1, v0
	s_mov_b32 s31, 0x31004000
	v_and_b32_e32 v57, 15, v0
	v_lshrrev_b32_e32 v59, 2, v0
	v_lshlrev_b32_e32 v58, 1, v0
	v_and_b32_e32 v56, 0x7e, v6
	v_and_b32_e32 v61, 8, v6
	v_lshlrev_b32_e32 v60, 1, v57
	v_lshlrev_b32_e32 v57, 2, v57
	v_and_b32_e32 v58, 64, v58
	s_load_b64 s[24:25], s[0:1], 0x10
	v_and_or_b32 v59, v59, 16, v61
	v_and_or_b32 v6, 0x60, v6, v60
	;; [unrolled: 1-line block ×3, first 2 shown]
	s_delay_alu instid0(VALU_DEP_3)
	v_lshlrev_b32_e32 v59, 7, v59
	s_wait_kmcnt 0x0
	s_add_co_i32 s2, s4, 63
	s_add_co_i32 s3, s5, 0x7f
	s_ashr_i32 s4, s2, 31
	s_ashr_i32 s5, s3, 31
	s_lshr_b32 s4, s4, 26
	s_lshr_b32 s5, s5, 25
	s_add_co_i32 s2, s2, s4
	s_add_co_i32 s3, s3, s5
	s_ashr_i32 s4, s2, 6
	s_ashr_i32 s3, s3, 7
	s_delay_alu instid0(SALU_CYCLE_1) | instskip(NEXT) | instid1(SALU_CYCLE_1)
	s_mul_i32 s5, s3, s4
	s_abs_i32 s5, s5
	s_delay_alu instid0(SALU_CYCLE_1) | instskip(SKIP_1) | instid1(SALU_CYCLE_2)
	s_cvt_f32_u32 s7, s5
	s_sub_co_i32 s8, 0, s5
	v_rcp_iflag_f32_e32 v1, s7
	s_delay_alu instid0(TRANS32_DEP_1) | instskip(SKIP_2) | instid1(SALU_CYCLE_2)
	v_readfirstlane_b32 s7, v1
	s_mul_f32 s7, s7, 0x4f7ffffe
	s_wait_alu 0xfffe
	s_cvt_u32_f32 s7, s7
	s_wait_alu 0xfffe
	s_delay_alu instid0(SALU_CYCLE_2) | instskip(NEXT) | instid1(SALU_CYCLE_1)
	s_mul_i32 s8, s8, s7
	s_mul_hi_u32 s8, s7, s8
	s_delay_alu instid0(SALU_CYCLE_1)
	s_add_co_i32 s7, s7, s8
	s_ashr_i32 s8, ttmp9, 31
	s_wait_alu 0xfffe
	s_mul_hi_u32 s7, s9, s7
	s_wait_alu 0xfffe
	s_mul_i32 s7, s7, s5
	s_wait_alu 0xfffe
	s_sub_co_i32 s7, s9, s7
	s_wait_alu 0xfffe
	s_sub_co_i32 s9, s7, s5
	s_cmp_ge_u32 s7, s5
	s_cselect_b32 s7, s9, s7
	s_wait_alu 0xfffe
	s_sub_co_i32 s9, s7, s5
	s_cmp_ge_u32 s7, s5
	s_cselect_b32 s5, s9, s7
	s_abs_i32 s7, s3
	s_xor_b32 s5, s5, s8
	s_wait_alu 0xfffe
	s_cvt_f32_u32 s9, s7
	s_sub_co_i32 s10, 0, s7
	s_sub_co_i32 s5, s5, s8
	s_delay_alu instid0(SALU_CYCLE_1) | instskip(NEXT) | instid1(TRANS32_DEP_1)
	v_rcp_iflag_f32_e32 v1, s9
	v_readfirstlane_b32 s9, v1
	s_mul_f32 s9, s9, 0x4f7ffffe
	s_wait_alu 0xfffe
	s_delay_alu instid0(SALU_CYCLE_2) | instskip(SKIP_1) | instid1(SALU_CYCLE_2)
	s_cvt_u32_f32 s9, s9
	s_wait_alu 0xfffe
	s_mul_i32 s10, s10, s9
	s_delay_alu instid0(SALU_CYCLE_1)
	s_mul_hi_u32 s8, s9, s10
	s_abs_i32 s10, s5
	s_wait_alu 0xfffe
	s_add_co_i32 s9, s9, s8
	s_wait_alu 0xfffe
	s_mul_hi_u32 s8, s10, s9
	s_xor_b32 s9, s5, s3
	s_wait_alu 0xfffe
	s_mul_i32 s11, s8, s7
	s_ashr_i32 s9, s9, 31
	s_sub_co_i32 s10, s10, s11
	s_add_co_i32 s11, s8, 1
	s_sub_co_i32 s12, s10, s7
	s_cmp_ge_u32 s10, s7
	s_cselect_b32 s8, s11, s8
	s_cselect_b32 s10, s12, s10
	s_wait_alu 0xfffe
	s_add_co_i32 s11, s8, 1
	s_cmp_ge_u32 s10, s7
	s_cselect_b32 s7, s11, s8
	s_abs_i32 s8, s6
	s_abs_i32 s12, s4
	s_wait_alu 0xfffe
	s_cvt_f32_u32 s10, s8
	s_sub_co_i32 s11, 0, s8
	s_xor_b32 s7, s7, s9
	s_ashr_i32 s2, s2, 31
	v_rcp_iflag_f32_e32 v1, s10
	s_delay_alu instid0(TRANS32_DEP_1) | instskip(SKIP_2) | instid1(SALU_CYCLE_2)
	v_readfirstlane_b32 s10, v1
	s_mul_f32 s10, s10, 0x4f7ffffe
	s_wait_alu 0xfffe
	s_cvt_u32_f32 s10, s10
	s_wait_alu 0xfffe
	s_delay_alu instid0(SALU_CYCLE_2)
	s_mul_i32 s11, s11, s10
	s_wait_alu 0xfffe
	s_mul_hi_u32 s11, s10, s11
	s_wait_alu 0xfffe
	s_add_co_i32 s10, s10, s11
	s_wait_alu 0xfffe
	s_mul_hi_u32 s11, s12, s10
	s_wait_alu 0xfffe
	s_mul_i32 s11, s11, s8
	s_wait_alu 0xfffe
	s_sub_co_i32 s11, s12, s11
	s_sub_co_i32 s12, s7, s9
	s_wait_alu 0xfffe
	s_sub_co_i32 s7, s11, s8
	s_cmp_ge_u32 s11, s8
	s_wait_alu 0xfffe
	s_cselect_b32 s7, s7, s11
	s_wait_alu 0xfffe
	s_sub_co_i32 s9, s7, s8
	s_cmp_ge_u32 s7, s8
	s_wait_alu 0xfffe
	s_cselect_b32 s7, s9, s7
	s_wait_alu 0xfffe
	s_xor_b32 s7, s7, s2
	s_wait_alu 0xfffe
	s_sub_co_i32 s2, s7, s2
	s_delay_alu instid0(SALU_CYCLE_1) | instskip(NEXT) | instid1(SALU_CYCLE_1)
	s_sub_co_i32 s4, s4, s2
	s_cmp_lt_i32 s12, s4
	s_cselect_b32 s13, s6, s2
	s_abs_i32 s2, s12
	s_mul_i32 s6, s12, s3
	s_mul_hi_u32 s4, s2, s10
	s_wait_alu 0xfffe
	s_sub_co_i32 s5, s5, s6
	s_mul_i32 s4, s4, s8
	s_delay_alu instid0(SALU_CYCLE_1)
	s_sub_co_i32 s2, s2, s4
	s_ashr_i32 s4, s12, 31
	s_sub_co_i32 s6, s2, s8
	s_cmp_ge_u32 s2, s8
	s_wait_alu 0xfffe
	s_cselect_b32 s2, s6, s2
	s_delay_alu instid0(SALU_CYCLE_1)
	s_sub_co_i32 s6, s2, s8
	s_cmp_ge_u32 s2, s8
	s_load_b128 s[8:11], s[0:1], 0x0
	s_cselect_b32 s2, s6, s2
	s_abs_i32 s7, s13
	s_xor_b32 s2, s2, s4
	s_wait_alu 0xfffe
	s_cvt_f32_u32 s6, s7
	s_sub_co_i32 s14, s2, s4
	s_sub_co_i32 s2, 0, s7
	s_mul_i32 s3, s14, s3
	s_wait_alu 0xfffe
	v_rcp_iflag_f32_e32 v1, s6
	s_add_co_i32 s3, s3, s5
	s_delay_alu instid0(SALU_CYCLE_1) | instskip(SKIP_1) | instid1(SALU_CYCLE_1)
	s_abs_i32 s4, s3
	s_xor_b32 s15, s3, s13
	s_ashr_i32 s15, s15, 31
	s_delay_alu instid0(TRANS32_DEP_1) | instskip(SKIP_4) | instid1(VALU_DEP_1)
	v_readfirstlane_b32 s6, v1
	v_lshlrev_b32_e32 v1, 3, v0
	s_wait_kmcnt 0x0
	s_mov_b32 s28, s8
	s_mul_f32 s6, s6, 0x4f7ffffe
	v_and_b32_e32 v2, 24, v1
	s_wait_alu 0xfffe
	s_delay_alu instid0(SALU_CYCLE_1) | instskip(NEXT) | instid1(VALU_DEP_1)
	s_cvt_u32_f32 s6, s6
	v_lshlrev_b32_e32 v1, 1, v2
	v_mul_u32_u24_e32 v62, 0x82, v2
	s_wait_alu 0xfffe
	s_mul_i32 s2, s2, s6
	v_lshlrev_b32_e32 v63, 7, v2
	s_mul_hi_u32 s2, s6, s2
	v_or_b32_e32 v61, 2, v1
	s_add_co_i32 s5, s6, s2
	s_clause 0x1
	s_load_b32 s2, s[0:1], 0x68
	s_load_b32 s6, s[0:1], 0xa0
	s_mul_hi_u32 s5, s4, s5
	v_or_b32_e32 v64, 4, v1
	s_mul_i32 s16, s5, s7
	v_or_b32_e32 v65, 6, v1
	s_sub_co_i32 s4, s4, s16
	s_add_co_i32 s16, s5, 1
	s_sub_co_i32 s17, s4, s7
	s_cmp_ge_u32 s4, s7
	v_or_b32_e32 v66, 8, v1
	s_cselect_b32 s5, s16, s5
	s_cselect_b32 s4, s17, s4
	s_add_co_i32 s16, s5, 1
	s_cmp_ge_u32 s4, s7
	s_mov_b32 s7, s31
	s_cselect_b32 s4, s16, s5
	s_clause 0x1
	s_load_b32 s20, s[0:1], 0x74
	s_load_b32 s16, s[0:1], 0x80
	s_xor_b32 s4, s4, s15
	s_and_b32 s5, s11, 0xffff
	s_sub_co_i32 s26, s4, s15
	s_clause 0x1
	s_load_b32 s30, s[0:1], 0x58
	s_load_b32 s15, s[0:1], 0x20
	v_lshl_add_u32 v3, s26, 7, v5
	s_mov_b32 s4, s10
	s_mul_i32 s10, s26, s13
	s_sub_co_i32 s27, s12, s14
	s_wait_alu 0xfffe
	s_sub_co_i32 s3, s3, s10
	s_wait_kmcnt 0x0
	v_mad_co_u64_u32 v[7:8], null, v3, s2, v[1:2]
	s_add_co_i32 s27, s27, s3
	s_and_b32 s29, s9, 0xffff
	s_wait_alu 0xfffe
	v_lshl_add_u32 v49, s27, 6, v56
	v_lshlrev_b32_e32 v5, 1, v5
	v_or_b32_e32 v67, 10, v1
	v_or_b32_e32 v68, 12, v1
	s_clause 0x5
	buffer_load_u16 v30, v7, s[4:7], null offen
	buffer_load_u16 v31, v7, s[4:7], null offen offset:2
	buffer_load_u16 v32, v7, s[4:7], null offen offset:4
	;; [unrolled: 1-line block ×5, first 2 shown]
	v_add_nc_u32_e32 v4, s2, v7
	v_mad_co_u64_u32 v[8:9], null, v49, s15, v[1:2]
	s_clause 0x1
	s_load_b32 s22, s[0:1], 0x2c
	s_load_b32 s10, s[0:1], 0x38
	s_clause 0x1
	buffer_load_u16 v35, v7, s[4:7], null offen offset:12
	buffer_load_u16 v29, v7, s[4:7], null offen offset:14
	v_add_nc_u32_e32 v7, 14, v4
	v_add_nc_u32_e32 v9, 12, v4
	s_clause 0x5
	buffer_load_u16 v21, v8, s[28:31], null offen
	buffer_load_u16 v19, v8, s[28:31], null offen offset:2
	buffer_load_u16 v16, v8, s[28:31], null offen offset:4
	;; [unrolled: 1-line block ×5, first 2 shown]
	v_add_nc_u32_e32 v10, 10, v4
	s_clause 0x1
	buffer_load_u16 v24, v7, s[4:7], null offen
	buffer_load_u16 v26, v9, s[4:7], null offen
	v_add_nc_u32_e32 v7, 8, v4
	v_add_nc_u32_e32 v9, 6, v4
	buffer_load_u16 v36, v10, s[4:7], null offen
	s_clause 0x1
	buffer_load_u16 v15, v8, s[28:31], null offen offset:12
	buffer_load_u16 v22, v8, s[28:31], null offen offset:14
	buffer_load_u16 v41, v7, s[4:7], null offen
	v_add_nc_u32_e32 v10, 4, v4
	v_add_nc_u32_e32 v7, 2, v4
	s_clause 0x1
	buffer_load_u16 v44, v9, s[4:7], null offen
	buffer_load_u16 v43, v10, s[4:7], null offen
	v_add_nc_u32_e32 v9, s2, v4
	s_clause 0x9
	buffer_load_u16 v46, v7, s[4:7], null offen
	buffer_load_u16 v45, v4, s[4:7], null offen
	;; [unrolled: 1-line block ×3, first 2 shown]
	buffer_load_u16 v54, v9, s[4:7], null offen offset:2
	buffer_load_u16 v53, v9, s[4:7], null offen offset:4
	;; [unrolled: 1-line block ×7, first 2 shown]
	v_add_nc_u32_e32 v4, s15, v8
	v_add_nc_u32_e32 v40, s2, v9
	v_or_b32_e32 v69, 14, v1
	v_cmp_gt_i32_e64 s2, s16, v1
	v_cmp_gt_i32_e64 s17, s20, v3
	v_add_nc_u32_e32 v7, 14, v4
	v_add_nc_u32_e32 v8, 12, v4
	;; [unrolled: 1-line block ×5, first 2 shown]
	s_clause 0x1
	buffer_load_u16 v9, v7, s[28:31], null offen
	buffer_load_u16 v10, v8, s[28:31], null offen
	v_add_nc_u32_e32 v7, 8, v4
	v_add_nc_u32_e32 v8, 6, v4
	;; [unrolled: 1-line block ×4, first 2 shown]
	s_clause 0x5
	buffer_load_u16 v11, v11, s[28:31], null offen
	buffer_load_u16 v12, v7, s[28:31], null offen
	;; [unrolled: 1-line block ×6, first 2 shown]
	v_add_nc_u32_e32 v4, 10, v40
	buffer_load_u16 v23, v25, s[4:7], null offen
	v_add_nc_u32_e32 v37, 8, v40
	buffer_load_u16 v25, v27, s[4:7], null offen
	;; [unrolled: 2-line block ×4, first 2 shown]
	v_add_nc_u32_e32 v4, 4, v40
	s_clause 0x3
	buffer_load_u16 v42, v38, s[4:7], null offen
	buffer_load_u16 v38, v4, s[4:7], null offen
	;; [unrolled: 1-line block ×4, first 2 shown]
	v_bfe_u32 v4, v0, 4, 1
	v_add3_u32 v62, v62, v63, v5
	s_wait_kmcnt 0x0
	v_cmp_gt_i32_e32 vcc_lo, s10, v1
	v_cmp_gt_i32_e64 s3, s10, v61
	v_cmp_gt_i32_e64 s4, s10, v64
	v_mad_u32_u24 v63, 0x82, v4, v6
	v_cmp_gt_i32_e64 s5, s10, v65
	v_cmp_gt_i32_e64 s6, s10, v66
	;; [unrolled: 1-line block ×7, first 2 shown]
	v_or_b32_e32 v5, 1, v3
	v_or_b32_e32 v6, 2, v3
	v_or_b32_e32 v65, 3, v3
	v_or_b32_e32 v3, 1, v49
	v_cmp_gt_i32_e64 s11, s16, v64
	s_and_b32 s23, s2, s17
	v_cmp_gt_i32_e64 s21, s22, v49
	v_cmp_gt_i32_e64 s13, s16, v66
	;; [unrolled: 1-line block ×9, first 2 shown]
	v_add_nc_u32_e32 v1, 64, v62
	v_add_nc_u32_e32 v61, 0x1344, v62
	;; [unrolled: 1-line block ×3, first 2 shown]
	s_and_b32 s25, s25, 0xffff
	s_wait_loadcnt 0x2f
	v_cndmask_b32_e64 v3, 0, v30, s23
	s_and_b32 s23, s10, s17
	s_wait_loadcnt 0x2e
	s_wait_alu 0xfffe
	v_cndmask_b32_e64 v5, 0, v31, s23
	s_and_b32 s23, s11, s17
	s_wait_loadcnt 0x2d
	s_wait_alu 0xfffe
	;; [unrolled: 4-line block ×3, first 2 shown]
	v_cndmask_b32_e64 v30, 0, v33, s23
	s_and_b32 s23, s13, s17
	v_lshrrev_b16 v33, 8, v5
	s_wait_loadcnt 0x2b
	s_wait_alu 0xfffe
	v_cndmask_b32_e64 v31, 0, v34, s23
	s_and_b32 s23, s14, s17
	v_lshrrev_b16 v34, 8, v6
	s_wait_loadcnt 0x2a
	s_wait_alu 0xfffe
	v_cndmask_b32_e64 v28, 0, v28, s23
	s_and_b32 s23, s15, s17
	s_and_b32 s17, s16, s17
	s_wait_loadcnt 0x29
	s_wait_alu 0xfffe
	v_cndmask_b32_e64 v32, 0, v35, s23
	s_wait_loadcnt 0x28
	v_cndmask_b32_e64 v29, 0, v29, s17
	s_and_b32 s17, vcc_lo, s21
	s_and_b32 vcc_lo, vcc_lo, s22
	s_wait_loadcnt 0x27
	s_wait_alu 0xfffe
	v_cndmask_b32_e64 v21, 0, v21, s17
	s_and_b32 s17, s3, s21
	s_and_b32 s3, s3, s22
	s_wait_loadcnt 0x26
	s_wait_alu 0xfffe
	v_cndmask_b32_e64 v19, 0, v19, s17
	s_and_b32 s17, s4, s21
	v_lshrrev_b16 v67, 8, v29
	s_wait_loadcnt 0x25
	s_wait_alu 0xfffe
	v_cndmask_b32_e64 v16, 0, v16, s17
	s_and_b32 s17, s5, s21
	v_lshrrev_b16 v35, 8, v30
	;; [unrolled: 5-line block ×3, first 2 shown]
	s_wait_loadcnt 0x23
	s_wait_alu 0xfffe
	v_cndmask_b32_e64 v17, 0, v17, s17
	s_and_b32 s17, s7, s21
	s_and_b32 s7, s7, s22
	s_wait_loadcnt 0x22
	s_wait_alu 0xfffe
	v_cndmask_b32_e64 v14, 0, v14, s17
	s_and_b32 s17, s8, s21
	s_and_b32 s8, s8, s22
	;; [unrolled: 5-line block ×3, first 2 shown]
	s_wait_loadcnt 0x1d
	s_wait_alu 0xfffe
	v_cndmask_b32_e64 v22, 0, v22, s17
	s_and_b32 s17, s16, s18
	s_wait_loadcnt 0xf
	v_cndmask_b32_e64 v9, 0, v9, s9
	s_wait_alu 0xfffe
	v_cndmask_b32_e64 v24, 0, v24, s17
	s_and_b32 s17, s15, s18
	s_and_b32 s4, s4, s22
	s_wait_alu 0xfffe
	v_cndmask_b32_e64 v26, 0, v26, s17
	s_and_b32 s17, s14, s18
	v_lshrrev_b16 v71, 8, v24
	s_wait_alu 0xfffe
	v_cndmask_b32_e64 v36, 0, v36, s17
	s_and_b32 s17, s13, s18
	v_perm_b32 v24, v24, v29, 0x5040100
	s_wait_alu 0xfffe
	v_cndmask_b32_e64 v41, 0, v41, s17
	s_and_b32 s17, s12, s18
	s_wait_loadcnt 0x9
	v_cndmask_b32_e64 v29, 0, v8, s3
	s_wait_alu 0xfffe
	v_cndmask_b32_e64 v44, 0, v44, s17
	s_and_b32 s17, s11, s18
	s_wait_loadcnt 0x8
	v_cndmask_b32_e32 v8, 0, v18, vcc_lo
	s_wait_alu 0xfffe
	v_cndmask_b32_e64 v43, 0, v43, s17
	s_and_b32 s17, s10, s18
	s_and_b32 vcc_lo, s16, s20
	s_wait_alu 0xfffe
	v_cndmask_b32_e64 v46, 0, v46, s17
	s_and_b32 s17, s2, s18
	s_wait_loadcnt 0x7
	v_cndmask_b32_e32 v18, 0, v23, vcc_lo
	s_wait_alu 0xfffe
	v_cndmask_b32_e64 v45, 0, v45, s17
	s_and_b32 s17, s2, s19
	s_and_b32 vcc_lo, s15, s20
	;; [unrolled: 9-line block ×3, first 2 shown]
	s_wait_alu 0xfffe
	v_cndmask_b32_e64 v53, 0, v53, s17
	s_and_b32 s17, s12, s19
	v_lshrrev_b16 v76, 8, v43
	v_lshrrev_b16 v77, 8, v46
	s_wait_alu 0xfffe
	v_cndmask_b32_e64 v52, 0, v52, s17
	s_and_b32 s17, s13, s19
	s_wait_loadcnt 0x5
	v_cndmask_b32_e32 v25, 0, v27, vcc_lo
	s_and_b32 vcc_lo, s13, s20
	s_wait_alu 0xfffe
	v_cndmask_b32_e64 v51, 0, v51, s17
	s_and_b32 s17, s14, s19
	v_lshrrev_b16 v75, 8, v44
	s_wait_loadcnt 0x4
	v_cndmask_b32_e32 v27, 0, v37, vcc_lo
	s_and_b32 vcc_lo, s12, s20
	s_wait_alu 0xfffe
	v_cndmask_b32_e64 v50, 0, v50, s17
	s_and_b32 s17, s15, s19
	v_lshrrev_b16 v72, 8, v26
	v_perm_b32 v26, v26, v32, 0x5040100
	v_cndmask_b32_e64 v11, 0, v11, s7
	s_wait_loadcnt 0x3
	v_cndmask_b32_e32 v32, 0, v42, vcc_lo
	v_perm_b32 v33, v77, v33, 0x5040100
	v_perm_b32 v34, v76, v34, 0x5040100
	s_wait_alu 0xfffe
	v_cndmask_b32_e64 v48, 0, v48, s17
	s_and_b32 s17, s16, s19
	v_cndmask_b32_e64 v10, 0, v10, s8
	v_cndmask_b32_e64 v7, 0, v7, s4
	v_lshlrev_b32_e32 v56, 1, v56
	s_and_b32 vcc_lo, s11, s20
	v_perm_b32 v35, v75, v35, 0x5040100
	v_lshrrev_b16 v65, 8, v28
	s_wait_alu 0xfffe
	v_cndmask_b32_e64 v47, 0, v47, s17
	v_lshrrev_b16 v73, 8, v36
	v_lshrrev_b16 v68, 8, v14
	v_lshrrev_b16 v70, 8, v22
	v_lshl_or_b32 v45, v55, 16, v45
	v_lshrrev_b16 v55, 8, v52
	v_lshrrev_b16 v78, 8, v51
	v_perm_b32 v5, v46, v5, 0x5040100
	v_perm_b32 v6, v43, v6, 0x5040100
	;; [unrolled: 1-line block ×3, first 2 shown]
	s_wait_loadcnt 0x2
	v_cndmask_b32_e32 v36, 0, v38, vcc_lo
	s_and_b32 vcc_lo, s10, s20
	v_lshrrev_b16 v46, 8, v11
	v_lshl_or_b32 v8, v8, 16, v21
	v_perm_b32 v11, v11, v14, 0x5040100
	v_perm_b32 v14, v9, v22, 0x5040100
	v_lshrrev_b16 v21, 8, v27
	v_lshrrev_b16 v22, 8, v32
	v_pk_lshlrev_b16 v33, 8, v33 op_sel_hi:[0,1]
	v_pk_lshlrev_b16 v34, 8, v34 op_sel_hi:[0,1]
	v_lshrrev_b16 v49, 8, v31
	v_lshrrev_b16 v69, 8, v15
	v_lshrrev_b16 v74, 8, v41
	v_lshrrev_b16 v80, 8, v48
	v_perm_b32 v30, v44, v30, 0x5040100
	v_perm_b32 v31, v41, v31, 0x5040100
	s_wait_loadcnt 0x1
	s_wait_alu 0xfffe
	v_cndmask_b32_e32 v37, 0, v39, vcc_lo
	s_and_b32 vcc_lo, s2, s20
	v_perm_b32 v41, v72, v66, 0x5040100
	v_lshrrev_b16 v44, 8, v10
	v_lshl_or_b32 v7, v7, 16, v16
	v_lshrrev_b16 v16, 8, v23
	v_mad_u32_u24 v56, 0x82, v2, v56
	v_lshrrev_b16 v79, 8, v50
	v_lshrrev_b16 v43, 8, v9
	;; [unrolled: 1-line block ×3, first 2 shown]
	v_pk_lshlrev_b16 v35, 8, v35 op_sel_hi:[0,1]
	v_lshrrev_b16 v81, 8, v47
	s_wait_loadcnt 0x0
	s_wait_alu 0xfffe
	v_cndmask_b32_e32 v38, 0, v40, vcc_lo
	v_perm_b32 v40, v73, v65, 0x5040100
	v_perm_b32 v10, v10, v15, 0x5040100
	v_lshrrev_b16 v15, 8, v18
	v_and_or_b32 v33, 0xff00ff, v5, v33
	v_and_or_b32 v34, 0xff00ff, v6, v34
	v_perm_b32 v6, v22, v55, 0x5040100
	v_perm_b32 v21, v21, v78, 0x5040100
	v_pk_lshlrev_b16 v41, 8, v41 op_sel_hi:[0,1]
	v_perm_b32 v44, v44, v69, 0x5040100
	v_perm_b32 v16, v16, v80, 0x5040100
	ds_store_2addr_b32 v56, v8, v7 offset1:65
	v_perm_b32 v8, v46, v68, 0x5040100
	v_and_or_b32 v22, 0xff00ff, v30, v35
	v_perm_b32 v30, v9, v79, 0x5040100
	v_perm_b32 v39, v74, v49, 0x5040100
	;; [unrolled: 1-line block ×3, first 2 shown]
	v_pk_lshlrev_b16 v40, 8, v40 op_sel_hi:[0,1]
	v_perm_b32 v43, v43, v70, 0x5040100
	v_perm_b32 v15, v15, v81, 0x5040100
	;; [unrolled: 1-line block ×3, first 2 shown]
	ds_store_2addr_stride64_b32 v1, v45, v33 offset0:16 offset1:17
	v_pk_lshlrev_b16 v1, 8, v6 op_sel_hi:[0,1]
	v_pk_lshlrev_b16 v6, 8, v21 op_sel_hi:[0,1]
	v_perm_b32 v23, v23, v48, 0x5040100
	v_and_or_b32 v9, 0xff00ff, v26, v41
	v_pk_lshlrev_b16 v26, 8, v44 op_sel_hi:[0,1]
	v_pk_lshlrev_b16 v16, 8, v16 op_sel_hi:[0,1]
	v_perm_b32 v32, v32, v52, 0x5040100
	v_perm_b32 v25, v25, v50, 0x5040100
	v_pk_lshlrev_b16 v8, 8, v8 op_sel_hi:[0,1]
	v_pk_lshlrev_b16 v21, 8, v30 op_sel_hi:[0,1]
	s_and_b32 s5, s5, s22
	v_pk_lshlrev_b16 v39, 8, v39 op_sel_hi:[0,1]
	v_perm_b32 v18, v18, v47, 0x5040100
	v_pk_lshlrev_b16 v42, 8, v42 op_sel_hi:[0,1]
	v_and_or_b32 v7, 0xff00ff, v28, v40
	v_pk_lshlrev_b16 v28, 8, v43 op_sel_hi:[0,1]
	v_pk_lshlrev_b16 v15, 8, v15 op_sel_hi:[0,1]
	v_and_or_b32 v6, 0xff00ff, v27, v6
	s_and_b32 s6, s6, s22
	s_wait_alu 0xfffe
	v_cndmask_b32_e64 v13, 0, v13, s5
	v_and_or_b32 v26, 0xff00ff, v10, v26
	v_and_or_b32 v10, 0xff00ff, v23, v16
	v_cndmask_b32_e64 v12, 0, v12, s6
	v_and_or_b32 v11, 0xff00ff, v11, v8
	v_and_or_b32 v1, 0xff00ff, v32, v1
	;; [unrolled: 1-line block ×7, first 2 shown]
	ds_store_b16 v56, v29 offset:132
	ds_store_b16 v56, v19 offset:130
	;; [unrolled: 1-line block ×6, first 2 shown]
	ds_store_b32 v56, v11 offset:650
	ds_store_b32 v56, v26 offset:780
	;; [unrolled: 1-line block ×3, first 2 shown]
	ds_store_b16 v62, v3 offset:4158
	ds_store_b16 v62, v38 offset:4164
	;; [unrolled: 1-line block ×4, first 2 shown]
	ds_store_b32 v62, v34 offset:4674
	ds_store_b16 v62, v53 offset:4678
	ds_store_b16 v62, v36 offset:4680
	ds_store_b64 v62, v[5:6] offset:5190
	ds_store_b64 v62, v[7:8] offset:5448
	ds_store_2addr_b32 v61, v22, v1 offset1:1
	ds_store_b64 v62, v[9:10] offset:5706
	ds_store_2addr_b32 v64, v24, v15 offset1:1
	s_wait_dscnt 0x0
	s_barrier_signal -1
	s_barrier_wait -1
	ds_load_u16 v26, v63
	ds_load_u16_d16 v6, v63 offset:1560
	ds_load_u16 v8, v63 offset:1884
	ds_load_u16_d16 v10, v63 offset:2600
	ds_load_u16 v12, v63 offset:780
	ds_load_u16 v1, v63 offset:64
	;; [unrolled: 1-line block ×3, first 2 shown]
	ds_load_u16_d16 v18, v63 offset:520
	v_mad_u32_u24 v14, 0x102, v4, v60
	ds_load_u16_d16 v4, v14 offset:5190
	ds_load_u16 v16, v14 offset:5706
	ds_load_u16 v34, v14 offset:4222
	ds_load_u16_d16 v37, v14 offset:5318
	ds_load_u16 v36, v14 offset:4350
	ds_load_u16 v3, v14 offset:6222
	ds_load_u16_d16 v19, v14 offset:7254
	ds_load_u16 v20, v14 offset:7770
	ds_load_u16 v38, v14 offset:6286
	ds_load_u16 v40, v14 offset:6350
	ds_load_u16 v41, v14 offset:7898
	ds_load_u16_d16 v43, v14 offset:7382
	ds_load_u16 v42, v14 offset:6414
	s_wait_dscnt 0x14
	ds_load_u16_d16_hi v26, v63 offset:260
	s_wait_dscnt 0x10
	ds_load_u16_d16_hi v1, v63 offset:324
	ds_load_u16_d16 v61, v63 offset:584
	ds_load_u16 v62, v63 offset:844
	s_wait_dscnt 0x12
	ds_load_u16_d16_hi v28, v63 offset:1300
	ds_load_u16_d16 v64, v63 offset:1624
	ds_load_u16 v30, v63 offset:2080
	ds_load_u16 v7, v63 offset:1104
	;; [unrolled: 1-line block ×3, first 2 shown]
	ds_load_u16_d16 v31, v14 offset:9318
	ds_load_u16 v33, v14 offset:9834
	ds_load_u16 v44, v14 offset:8350
	;; [unrolled: 1-line block ×4, first 2 shown]
	ds_load_u16_d16 v49, v14 offset:9446
	ds_load_u16 v48, v14 offset:8478
	ds_load_u16 v15, v14 offset:4158
	ds_load_u16 v32, v63 offset:3120
	ds_load_u16_d16 v65, v63 offset:2664
	ds_load_u16 v66, v63 offset:2924
	ds_load_u16 v9, v63 offset:3184
	ds_load_u16 v13, v63 offset:2144
	ds_load_u16 v11, v14 offset:10350
	ds_load_u16_d16 v35, v14 offset:11382
	ds_load_u16 v39, v14 offset:11898
	;; [unrolled: 5-line block ×3, first 2 shown]
	s_wait_dscnt 0x17
	ds_load_u16_d16_hi v30, v63 offset:2340
	ds_load_u16_d16 v45, v63 offset:3640
	s_wait_dscnt 0x18
	ds_load_u16_d16_hi v7, v63 offset:1364
	ds_load_u16 v21, v63 offset:1820
	ds_load_u16 v56, v14 offset:4286
	ds_load_u16_d16_hi v36, v14 offset:4866
	ds_load_u16 v51, v63 offset:3900
	s_wait_dscnt 0x14
	ds_load_u16_d16_hi v15, v14 offset:4674
	ds_load_u16_d16_hi v3, v14 offset:6738
	;; [unrolled: 1-line block ×3, first 2 shown]
	v_or3_b32 v17, v59, v58, v57
	v_perm_b32 v16, v4, v16, 0x1000504
	v_perm_b32 v27, v18, v12, 0x1000504
	s_wait_dscnt 0x13
	ds_load_u16_d16_hi v9, v63 offset:3444
	s_wait_dscnt 0x13
	ds_load_u16_d16_hi v13, v63 offset:2404
	ds_load_u16 v12, v63 offset:2860
	ds_load_u16_d16_hi v32, v63 offset:3380
	ds_load_u16_d16 v67, v63 offset:3704
	ds_load_u16 v63, v63 offset:3964
	ds_load_u16_d16 v57, v14 offset:5254
	ds_load_u16 v58, v14 offset:5770
	ds_load_u16 v68, v14 offset:5834
	;; [unrolled: 1-line block ×3, first 2 shown]
	ds_load_u16_d16 v70, v14 offset:5382
	ds_load_u16_d16_hi v34, v14 offset:4738
	s_wait_dscnt 0x11
	ds_load_u16_d16_hi v56, v14 offset:4802
	ds_load_u16_d16 v59, v14 offset:7318
	ds_load_u16 v60, v14 offset:7834
	ds_load_u16 v71, v14 offset:7962
	ds_load_u16_d16 v72, v14 offset:7446
	ds_load_u16_d16_hi v38, v14 offset:6802
	ds_load_u16_d16_hi v40, v14 offset:6866
	;; [unrolled: 1-line block ×4, first 2 shown]
	v_perm_b32 v4, v19, v20, 0x1000504
	v_perm_b32 v29, v6, v21, 0x1000504
	s_wait_dscnt 0x17
	v_wmma_i32_16x16x16_iu8 v[18:25], v[26:27], v[15:16], 0 neg_lo:[1,1,0]
	v_perm_b32 v6, v31, v33, 0x1000504
	v_perm_b32 v33, v45, v51, 0x1000504
	v_bfe_u32 v45, v0, 2, 5
	s_wait_dscnt 0x12
	v_perm_b32 v31, v10, v12, 0x1000504
	v_wmma_i32_16x16x16_iu8 v[18:25], v[28:29], v[3:4], v[18:25] neg_lo:[1,1,0]
	v_perm_b32 v12, v35, v39, 0x1000504
	ds_load_u16_d16 v10, v14 offset:9382
	ds_load_u16 v73, v14 offset:9898
	ds_load_u16 v74, v14 offset:10026
	ds_load_u16_d16 v75, v14 offset:9510
	ds_load_u16_d16_hi v44, v14 offset:8866
	ds_load_u16_d16_hi v46, v14 offset:8930
	;; [unrolled: 1-line block ×3, first 2 shown]
	ds_load_u16_d16 v35, v14 offset:11446
	ds_load_u16 v51, v14 offset:11962
	ds_load_u16 v76, v14 offset:12090
	ds_load_u16_d16 v77, v14 offset:11574
	ds_load_u16_d16_hi v50, v14 offset:10930
	ds_load_u16_d16_hi v52, v14 offset:10994
	;; [unrolled: 1-line block ×3, first 2 shown]
	v_lshrrev_b32_e32 v14, 7, v0
	v_wmma_i32_16x16x16_iu8 v[18:25], v[30:31], v[5:6], v[18:25] neg_lo:[1,1,0]
	s_wait_dscnt 0x0
	s_barrier_signal -1
	s_barrier_wait -1
	v_lshlrev_b32_e32 v0, 7, v45
	v_perm_b32 v39, v59, v60, 0x1000504
	v_wmma_i32_16x16x16_iu8 v[18:25], v[32:33], v[11:12], v[18:25] neg_lo:[1,1,0]
	ds_store_2addr_b32 v17, v18, v19 offset1:32
	ds_store_2addr_b32 v17, v20, v21 offset0:64 offset1:96
	ds_store_2addr_b32 v17, v22, v23 offset0:128 offset1:160
	;; [unrolled: 1-line block ×3, first 2 shown]
	v_lshlrev_b32_e32 v18, 12, v14
	v_lshlrev_b32_e32 v19, 2, v2
	s_clause 0x1
	s_load_b32 s3, s[0:1], 0xc8
	s_load_b32 s4, s[0:1], 0xbc
	s_wait_dscnt 0x0
	s_barrier_signal -1
	s_barrier_wait -1
	v_or3_b32 v78, v0, v18, v19
	v_lshl_or_b32 v0, s26, 7, v2
	v_add_nc_u32_e32 v14, s27, v14
	v_perm_b32 v51, v35, v51, 0x1000504
	v_perm_b32 v35, v57, v58, 0x1000504
	ds_load_2addr_b64 v[18:21], v78 offset0:2 offset1:3
	ds_load_2addr_b64 v[22:25], v78 offset1:1
	s_clause 0x1
	s_load_b32 s5, s[0:1], 0xb0
	s_load_b32 s26, s[0:1], 0xf0
	v_lshl_or_b32 v79, v14, 6, v45
	v_perm_b32 v45, v10, v73, 0x1000504
	s_mov_b32 s27, s31
	v_perm_b32 v41, v43, v41, 0x1000504
	v_perm_b32 v47, v49, v47, 0x1000504
	;; [unrolled: 1-line block ×4, first 2 shown]
	s_wait_kmcnt 0x0
	v_cmp_gt_i32_e32 vcc_lo, s3, v0
	v_cmp_gt_i32_e64 s2, s4, v79
	s_and_b32 s0, vcc_lo, s2
	s_wait_dscnt 0x1
	v_and_b32_e32 v2, 0xff, v18
	v_lshlrev_b16 v10, 8, v19
	v_and_b32_e32 v14, 0xff, v20
	v_lshlrev_b16 v57, 8, v21
	s_wait_dscnt 0x0
	v_and_b32_e32 v58, 0xff, v22
	v_lshlrev_b16 v59, 8, v23
	v_and_b32_e32 v60, 0xff, v24
	v_lshlrev_b16 v73, 8, v25
	v_wmma_i32_16x16x16_iu8 v[18:25], v[26:27], v[34:35], 0 neg_lo:[1,1,0]
	v_or_b32_e32 v2, v2, v10
	v_or_b32_e32 v10, v14, v57
	;; [unrolled: 1-line block ×4, first 2 shown]
	v_wmma_i32_16x16x16_iu8 v[18:25], v[28:29], v[38:39], v[18:25] neg_lo:[1,1,0]
	v_mad_co_u64_u32 v[58:59], null, v79, s5, v[0:1]
	v_cndmask_b32_e64 v59, 0x80000000, 0, s0
	v_and_b32_e32 v2, 0xffff, v2
	v_lshlrev_b32_e32 v10, 16, v10
	v_and_b32_e32 v14, 0xffff, v14
	v_lshlrev_b32_e32 v57, 16, v57
	v_wmma_i32_16x16x16_iu8 v[18:25], v[30:31], v[44:45], v[18:25] neg_lo:[1,1,0]
	v_add_nc_u32_e32 v73, v59, v58
	v_or_b32_e32 v60, v2, v10
	v_or_b32_e32 v2, 32, v0
	;; [unrolled: 1-line block ×3, first 2 shown]
	v_wmma_i32_16x16x16_iu8 v[18:25], v[32:33], v[50:51], v[18:25] neg_lo:[1,1,0]
	v_perm_b32 v57, v37, v68, 0x1000504
	s_delay_alu instid0(VALU_DEP_4)
	v_cmp_gt_i32_e64 s0, s3, v2
	buffer_store_b64 v[59:60], v73, s[24:27], null offen
	s_wait_dscnt 0x0
	s_barrier_signal -1
	s_barrier_wait -1
	ds_store_2addr_b32 v17, v18, v19 offset1:32
	ds_store_2addr_b32 v17, v20, v21 offset0:64 offset1:96
	ds_store_2addr_b32 v17, v22, v23 offset0:128 offset1:160
	ds_store_2addr_b32 v17, v24, v25 offset0:192 offset1:224
	s_wait_dscnt 0x0
	s_barrier_signal -1
	s_barrier_wait -1
	ds_load_2addr_b64 v[18:21], v78 offset0:2 offset1:3
	ds_load_2addr_b64 v[22:25], v78 offset1:1
	s_and_b32 s1, s2, s0
	s_wait_alu 0xfffe
	v_cndmask_b32_e64 v2, 0x80000000, 0, s1
	s_delay_alu instid0(VALU_DEP_1)
	v_add_nc_u32_e32 v2, v58, v2
	s_wait_dscnt 0x1
	v_and_b32_e32 v10, 0xff, v18
	v_lshlrev_b16 v14, 8, v19
	v_and_b32_e32 v37, 0xff, v20
	v_lshlrev_b16 v43, 8, v21
	s_wait_dscnt 0x0
	v_and_b32_e32 v49, 0xff, v22
	v_lshlrev_b16 v59, 8, v23
	v_and_b32_e32 v60, 0xff, v24
	v_lshlrev_b16 v68, 8, v25
	v_wmma_i32_16x16x16_iu8 v[18:25], v[26:27], v[56:57], 0 neg_lo:[1,1,0]
	v_or_b32_e32 v10, v10, v14
	v_or_b32_e32 v14, v37, v43
	;; [unrolled: 1-line block ×4, first 2 shown]
	v_wmma_i32_16x16x16_iu8 v[18:25], v[28:29], v[40:41], v[18:25] neg_lo:[1,1,0]
	v_and_b32_e32 v10, 0xffff, v10
	v_lshlrev_b32_e32 v14, 16, v14
	v_and_b32_e32 v37, 0xffff, v37
	v_lshlrev_b32_e32 v43, 16, v43
	v_wmma_i32_16x16x16_iu8 v[18:25], v[30:31], v[46:47], v[18:25] neg_lo:[1,1,0]
	v_perm_b32 v49, v75, v74, 0x1000504
	v_or_b32_e32 v60, v10, v14
	s_delay_alu instid0(VALU_DEP_4) | instskip(NEXT) | instid1(VALU_DEP_4)
	v_or_b32_e32 v59, v37, v43
	v_wmma_i32_16x16x16_iu8 v[18:25], v[32:33], v[52:53], v[18:25] neg_lo:[1,1,0]
	v_perm_b32 v37, v70, v69, 0x1000504
	v_perm_b32 v43, v72, v71, 0x1000504
	buffer_store_b64 v[59:60], v2, s[24:27], null offen offset:32
	s_wait_dscnt 0x0
	s_barrier_signal -1
	s_barrier_wait -1
	ds_store_2addr_b32 v17, v18, v19 offset1:32
	ds_store_2addr_b32 v17, v20, v21 offset0:64 offset1:96
	ds_store_2addr_b32 v17, v22, v23 offset0:128 offset1:160
	;; [unrolled: 1-line block ×3, first 2 shown]
	s_wait_dscnt 0x0
	s_barrier_signal -1
	s_barrier_wait -1
	ds_load_2addr_b64 v[18:21], v78 offset0:2 offset1:3
	ds_load_2addr_b64 v[22:25], v78 offset1:1
	v_or_b32_e32 v2, 64, v0
	v_or_b32_e32 v0, 0x60, v0
	s_delay_alu instid0(VALU_DEP_2) | instskip(NEXT) | instid1(VALU_DEP_2)
	v_cmp_gt_i32_e64 s1, s3, v2
	v_cmp_gt_i32_e64 s3, s3, v0
	s_and_b32 s6, s2, s1
	s_and_b32 s2, s2, s3
	s_wait_alu 0xfffe
	v_cndmask_b32_e64 v2, 0x80000000, 0, s6
	v_cndmask_b32_e64 v0, 0x80000000, 0, s2
	s_delay_alu instid0(VALU_DEP_2)
	v_add_nc_u32_e32 v2, v58, v2
	s_wait_dscnt 0x1
	v_and_b32_e32 v10, 0xff, v18
	v_lshlrev_b16 v14, 8, v19
	v_and_b32_e32 v55, 0xff, v20
	v_lshlrev_b16 v59, 8, v21
	s_wait_dscnt 0x0
	v_and_b32_e32 v60, 0xff, v22
	v_lshlrev_b16 v68, 8, v23
	v_and_b32_e32 v69, 0xff, v24
	v_lshlrev_b16 v70, 8, v25
	v_wmma_i32_16x16x16_iu8 v[18:25], v[26:27], v[36:37], 0 neg_lo:[1,1,0]
	v_or_b32_e32 v10, v10, v14
	v_or_b32_e32 v14, v55, v59
	v_or_b32_e32 v26, v60, v68
	v_or_b32_e32 v27, v69, v70
	v_wmma_i32_16x16x16_iu8 v[18:25], v[28:29], v[42:43], v[18:25] neg_lo:[1,1,0]
	v_and_b32_e32 v10, 0xffff, v10
	v_lshlrev_b32_e32 v14, 16, v14
	v_and_b32_e32 v26, 0xffff, v26
	v_lshlrev_b32_e32 v28, 16, v27
	v_perm_b32 v55, v77, v76, 0x1000504
	v_wmma_i32_16x16x16_iu8 v[18:25], v[30:31], v[48:49], v[18:25] neg_lo:[1,1,0]
	v_or_b32_e32 v27, v10, v14
	v_perm_b32 v14, v65, v66, 0x1000504
	v_or_b32_e32 v26, v26, v28
	v_add_nc_u32_e32 v59, 0x60, v58
	v_wmma_i32_16x16x16_iu8 v[18:25], v[32:33], v[54:55], v[18:25] neg_lo:[1,1,0]
	buffer_store_b64 v[26:27], v2, s[24:27], null offen offset:64
	s_wait_dscnt 0x0
	s_barrier_signal -1
	s_barrier_wait -1
	ds_store_2addr_b32 v17, v18, v19 offset1:32
	ds_store_2addr_b32 v17, v20, v21 offset0:64 offset1:96
	ds_store_2addr_b32 v17, v22, v23 offset0:128 offset1:160
	;; [unrolled: 1-line block ×3, first 2 shown]
	s_wait_dscnt 0x0
	s_barrier_signal -1
	s_barrier_wait -1
	ds_load_2addr_b64 v[26:29], v78 offset0:2 offset1:3
	ds_load_2addr_b64 v[30:33], v78 offset1:1
	v_perm_b32 v2, v61, v62, 0x1000504
	v_add_nc_u32_e32 v0, v0, v59
	s_delay_alu instid0(VALU_DEP_2) | instskip(NEXT) | instid1(VALU_DEP_1)
	v_wmma_i32_16x16x16_iu8 v[18:25], v[1:2], v[36:37], 0 neg_lo:[1,1,0]
	v_wmma_i32_16x16x16_iu8 v[18:25], v[7:8], v[42:43], v[18:25] neg_lo:[1,1,0]
	s_delay_alu instid0(VALU_DEP_1)
	v_wmma_i32_16x16x16_iu8 v[18:25], v[13:14], v[48:49], v[18:25] neg_lo:[1,1,0]
	s_wait_dscnt 0x1
	v_and_b32_e32 v10, 0xff, v26
	v_lshlrev_b16 v26, 8, v27
	v_and_b32_e32 v27, 0xff, v28
	v_lshlrev_b16 v28, 8, v29
	s_wait_dscnt 0x0
	v_and_b32_e32 v29, 0xff, v30
	v_lshlrev_b16 v30, 8, v31
	v_and_b32_e32 v31, 0xff, v32
	v_lshlrev_b16 v32, 8, v33
	v_or_b32_e32 v10, v10, v26
	v_or_b32_e32 v26, v27, v28
	;; [unrolled: 1-line block ×3, first 2 shown]
	s_delay_alu instid0(VALU_DEP_4) | instskip(NEXT) | instid1(VALU_DEP_4)
	v_or_b32_e32 v28, v31, v32
	v_and_b32_e32 v29, 0xffff, v10
	s_delay_alu instid0(VALU_DEP_4) | instskip(NEXT) | instid1(VALU_DEP_4)
	v_lshlrev_b32_e32 v26, 16, v26
	v_and_b32_e32 v30, 0xffff, v27
	v_perm_b32 v10, v67, v63, 0x1000504
	v_lshlrev_b32_e32 v28, 16, v28
	s_delay_alu instid0(VALU_DEP_4) | instskip(NEXT) | instid1(VALU_DEP_3)
	v_or_b32_e32 v27, v29, v26
	v_wmma_i32_16x16x16_iu8 v[18:25], v[9:10], v[54:55], v[18:25] neg_lo:[1,1,0]
	s_delay_alu instid0(VALU_DEP_3)
	v_or_b32_e32 v26, v30, v28
	buffer_store_b64 v[26:27], v0, s[24:27], null offen
	s_wait_dscnt 0x0
	s_barrier_signal -1
	s_barrier_wait -1
	ds_store_2addr_b32 v17, v18, v19 offset1:32
	ds_store_2addr_b32 v17, v20, v21 offset0:64 offset1:96
	ds_store_2addr_b32 v17, v22, v23 offset0:128 offset1:160
	ds_store_2addr_b32 v17, v24, v25 offset0:192 offset1:224
	s_wait_dscnt 0x0
	s_barrier_signal -1
	s_barrier_wait -1
	ds_load_2addr_b64 v[18:21], v78 offset0:2 offset1:3
	ds_load_2addr_b64 v[22:25], v78 offset1:1
	v_or_b32_e32 v0, 32, v79
	s_delay_alu instid0(VALU_DEP_1)
	v_cmp_gt_i32_e64 s2, s4, v0
	s_lshl_b32 s4, s5, 5
	s_wait_alu 0xfffe
	v_add_nc_u32_e32 v28, s4, v59
	s_and_b32 s3, s3, s2
	s_and_b32 s1, s1, s2
	s_wait_alu 0xfffe
	v_cndmask_b32_e64 v0, 0x80000000, 0, s3
	s_and_b32 s0, s0, s2
	s_delay_alu instid0(VALU_DEP_1)
	v_add_nc_u32_e32 v0, v0, v28
	s_wait_dscnt 0x1
	v_and_b32_e32 v26, 0xff, v18
	v_lshlrev_b16 v27, 8, v19
	v_and_b32_e32 v29, 0xff, v20
	v_lshlrev_b16 v30, 8, v21
	s_wait_dscnt 0x0
	v_and_b32_e32 v31, 0xff, v22
	v_lshlrev_b16 v32, 8, v23
	v_and_b32_e32 v33, 0xff, v24
	v_lshlrev_b16 v36, 8, v25
	v_wmma_i32_16x16x16_iu8 v[18:25], v[1:2], v[56:57], 0 neg_lo:[1,1,0]
	v_or_b32_e32 v26, v26, v27
	v_or_b32_e32 v27, v29, v30
	;; [unrolled: 1-line block ×4, first 2 shown]
	v_wmma_i32_16x16x16_iu8 v[18:25], v[7:8], v[40:41], v[18:25] neg_lo:[1,1,0]
	v_and_b32_e32 v26, 0xffff, v26
	v_lshlrev_b32_e32 v27, 16, v27
	v_and_b32_e32 v29, 0xffff, v29
	v_lshlrev_b32_e32 v30, 16, v30
	v_wmma_i32_16x16x16_iu8 v[18:25], v[13:14], v[46:47], v[18:25] neg_lo:[1,1,0]
	s_delay_alu instid0(VALU_DEP_4) | instskip(NEXT) | instid1(VALU_DEP_3)
	v_or_b32_e32 v27, v26, v27
	v_or_b32_e32 v26, v29, v30
	s_delay_alu instid0(VALU_DEP_3)
	v_wmma_i32_16x16x16_iu8 v[18:25], v[9:10], v[52:53], v[18:25] neg_lo:[1,1,0]
	buffer_store_b64 v[26:27], v0, s[24:27], null offen
	s_wait_dscnt 0x0
	s_barrier_signal -1
	s_barrier_wait -1
	ds_store_2addr_b32 v17, v18, v19 offset1:32
	ds_store_2addr_b32 v17, v20, v21 offset0:64 offset1:96
	ds_store_2addr_b32 v17, v22, v23 offset0:128 offset1:160
	;; [unrolled: 1-line block ×3, first 2 shown]
	s_wait_dscnt 0x0
	s_barrier_signal -1
	s_barrier_wait -1
	ds_load_2addr_b64 v[18:21], v78 offset0:2 offset1:3
	ds_load_2addr_b64 v[22:25], v78 offset1:1
	v_cndmask_b32_e64 v0, 0x80000000, 0, s1
	s_delay_alu instid0(VALU_DEP_1)
	v_add3_u32 v0, v28, v0, 0xffffffe0
	s_wait_dscnt 0x1
	v_and_b32_e32 v26, 0xff, v18
	v_lshlrev_b16 v27, 8, v19
	v_and_b32_e32 v29, 0xff, v20
	v_lshlrev_b16 v30, 8, v21
	s_wait_dscnt 0x0
	v_and_b32_e32 v31, 0xff, v22
	v_lshlrev_b16 v32, 8, v23
	v_and_b32_e32 v33, 0xff, v24
	v_lshlrev_b16 v36, 8, v25
	v_wmma_i32_16x16x16_iu8 v[18:25], v[1:2], v[34:35], 0 neg_lo:[1,1,0]
	v_or_b32_e32 v26, v26, v27
	v_or_b32_e32 v27, v29, v30
	;; [unrolled: 1-line block ×4, first 2 shown]
	v_wmma_i32_16x16x16_iu8 v[18:25], v[7:8], v[38:39], v[18:25] neg_lo:[1,1,0]
	v_and_b32_e32 v26, 0xffff, v26
	v_lshlrev_b32_e32 v27, 16, v27
	v_and_b32_e32 v29, 0xffff, v29
	v_lshlrev_b32_e32 v30, 16, v30
	v_wmma_i32_16x16x16_iu8 v[18:25], v[13:14], v[44:45], v[18:25] neg_lo:[1,1,0]
	s_delay_alu instid0(VALU_DEP_4) | instskip(NEXT) | instid1(VALU_DEP_3)
	v_or_b32_e32 v27, v26, v27
	v_or_b32_e32 v26, v29, v30
	s_delay_alu instid0(VALU_DEP_3)
	v_wmma_i32_16x16x16_iu8 v[18:25], v[9:10], v[50:51], v[18:25] neg_lo:[1,1,0]
	buffer_store_b64 v[26:27], v0, s[24:27], null offen
	s_wait_dscnt 0x0
	s_barrier_signal -1
	s_barrier_wait -1
	ds_store_2addr_b32 v17, v18, v19 offset1:32
	ds_store_2addr_b32 v17, v20, v21 offset0:64 offset1:96
	ds_store_2addr_b32 v17, v22, v23 offset0:128 offset1:160
	;; [unrolled: 1-line block ×3, first 2 shown]
	s_wait_dscnt 0x0
	s_barrier_signal -1
	s_barrier_wait -1
	ds_load_2addr_b64 v[18:21], v78 offset0:2 offset1:3
	ds_load_2addr_b64 v[22:25], v78 offset1:1
	v_cndmask_b32_e64 v0, 0x80000000, 0, s0
	s_and_b32 s0, vcc_lo, s2
	s_wait_dscnt 0x1
	v_and_b32_e32 v26, 0xff, v18
	v_lshlrev_b16 v27, 8, v19
	v_and_b32_e32 v29, 0xff, v20
	v_lshlrev_b16 v30, 8, v21
	s_wait_dscnt 0x0
	v_and_b32_e32 v31, 0xff, v22
	v_lshlrev_b16 v32, 8, v23
	v_and_b32_e32 v33, 0xff, v24
	v_lshlrev_b16 v34, 8, v25
	v_wmma_i32_16x16x16_iu8 v[18:25], v[1:2], v[15:16], 0 neg_lo:[1,1,0]
	v_or_b32_e32 v1, v26, v27
	v_or_b32_e32 v2, v29, v30
	v_or_b32_e32 v15, v31, v32
	v_or_b32_e32 v16, v33, v34
	v_wmma_i32_16x16x16_iu8 v[18:25], v[7:8], v[3:4], v[18:25] neg_lo:[1,1,0]
	v_and_b32_e32 v1, 0xffff, v1
	v_lshlrev_b32_e32 v2, 16, v2
	v_and_b32_e32 v3, 0xffff, v15
	v_lshlrev_b32_e32 v4, 16, v16
	v_wmma_i32_16x16x16_iu8 v[18:25], v[13:14], v[5:6], v[18:25] neg_lo:[1,1,0]
	v_add3_u32 v7, v28, v0, 0xffffffc0
	v_or_b32_e32 v1, v1, v2
	s_delay_alu instid0(VALU_DEP_4) | instskip(NEXT) | instid1(VALU_DEP_4)
	v_or_b32_e32 v0, v3, v4
	v_wmma_i32_16x16x16_iu8 v[18:25], v[9:10], v[11:12], v[18:25] neg_lo:[1,1,0]
	buffer_store_b64 v[0:1], v7, s[24:27], null offen
	s_wait_dscnt 0x0
	s_barrier_signal -1
	s_barrier_wait -1
	ds_store_2addr_b32 v17, v18, v19 offset1:32
	ds_store_2addr_b32 v17, v20, v21 offset0:64 offset1:96
	ds_store_2addr_b32 v17, v22, v23 offset0:128 offset1:160
	ds_store_2addr_b32 v17, v24, v25 offset0:192 offset1:224
	s_wait_dscnt 0x0
	s_barrier_signal -1
	s_barrier_wait -1
	ds_load_2addr_b64 v[0:3], v78 offset0:2 offset1:3
	ds_load_2addr_b64 v[4:7], v78 offset1:1
	s_wait_dscnt 0x1
	v_and_b32_e32 v0, 0xff, v0
	v_lshlrev_b16 v1, 8, v1
	v_and_b32_e32 v2, 0xff, v2
	v_lshlrev_b16 v3, 8, v3
	s_wait_dscnt 0x0
	v_and_b32_e32 v4, 0xff, v4
	v_lshlrev_b16 v5, 8, v5
	v_and_b32_e32 v6, 0xff, v6
	v_lshlrev_b16 v7, 8, v7
	v_or_b32_e32 v0, v0, v1
	v_or_b32_e32 v1, v2, v3
	;; [unrolled: 1-line block ×3, first 2 shown]
	v_cndmask_b32_e64 v4, 0x80000000, 0, s0
	v_or_b32_e32 v3, v6, v7
	v_and_b32_e32 v0, 0xffff, v0
	v_lshlrev_b32_e32 v1, 16, v1
	v_and_b32_e32 v2, 0xffff, v2
	s_delay_alu instid0(VALU_DEP_4) | instskip(NEXT) | instid1(VALU_DEP_3)
	v_lshlrev_b32_e32 v3, 16, v3
	v_or_b32_e32 v1, v0, v1
	s_delay_alu instid0(VALU_DEP_2)
	v_or_b32_e32 v0, v2, v3
	v_add3_u32 v2, v58, s4, v4
	buffer_store_b64 v[0:1], v2, s[24:27], null offen
	s_endpgm
	.section	.rodata,"a",@progbits
	.p2align	6, 0x0
	.amdhsa_kernel _ZN2ck16kernel_gemm_wmmaINS_17GridwiseGemm_WmmaILi128EaaiiaLNS_25InMemoryDataOperationEnumE0ENS_16TensorDescriptorINS_5TupleIJNS_5EmbedINS4_IJiiEEENS4_IJiNS_17integral_constantIiLi1EEEEEELb0EEENS_8RightPadIiiLb0EEESC_NS_7UnMergeINS4_IJiNS7_IiLi2EEEEEELb0EEENS_11PassThroughIiEEEEENS4_IJNS_8SequenceIJLi0EEEENSK_IJLi1EEEENSK_IJLi2EEEENSK_IJLi4EEEENSK_IJLi3EEEEEEENS4_IJNSK_IJLi1ELi2EEEESP_SO_NSK_IJLi5ELi6EEEENSK_IJLi7EEEEEEENSK_IJLi5ELi7ELi6EEEElEESW_NS3_INS4_IJSA_SC_SC_EEENS4_IJSL_SM_SN_EEENS4_IJSR_SP_SO_EEENSK_IJLi3ELi4EEEElEENS_16tensor_operation12element_wise11PassThroughES14_S14_Li64ELi128ELi64ELi16ELi16ELi2ELi2ELi4ENSK_IJLi4ELi32ELi1EEEENSK_IJLi1ELi0ELi2EEEES16_Li2ELi2ELi2ELb0ELb1ELb1ES15_S16_S16_Li2ELi2ELi2ELb0ELb1ELb1ELi1ELi1ENSK_IJLi1ELi32ELi1ELi4EEEELi8ELi1ELNS_13LoopSchedulerE0ELNS_15PipelineVersionE0EEEaaaSW_SW_NS3_INS4_IJSA_SC_SC_NSD_INS4_IJiNS7_IiLi64EEEEEELb0EEENSD_INS4_IJiNS7_IiLi128EEEEEELb0EEEEEENS4_IJSL_SM_SN_SP_SO_EEENS4_IJSR_SP_SO_SS_NSK_IJLi7ELi8EEEEEEENSK_IJLi5ELi6ELi7ELi8EEEElEES14_S14_S14_NS_31BlockToCTileMap_M00_N0_M01AdaptILi64ELi128ES11_iEELb0EEEvPKT0_PKT1_PT2_T3_T4_T5_T6_T7_T8_T9_
		.amdhsa_group_segment_fixed_size 12412
		.amdhsa_private_segment_fixed_size 0
		.amdhsa_kernarg_size 264
		.amdhsa_user_sgpr_count 2
		.amdhsa_user_sgpr_dispatch_ptr 0
		.amdhsa_user_sgpr_queue_ptr 0
		.amdhsa_user_sgpr_kernarg_segment_ptr 1
		.amdhsa_user_sgpr_dispatch_id 0
		.amdhsa_user_sgpr_private_segment_size 0
		.amdhsa_wavefront_size32 1
		.amdhsa_uses_dynamic_stack 0
		.amdhsa_enable_private_segment 0
		.amdhsa_system_sgpr_workgroup_id_x 1
		.amdhsa_system_sgpr_workgroup_id_y 0
		.amdhsa_system_sgpr_workgroup_id_z 0
		.amdhsa_system_sgpr_workgroup_info 0
		.amdhsa_system_vgpr_workitem_id 0
		.amdhsa_next_free_vgpr 82
		.amdhsa_next_free_sgpr 32
		.amdhsa_reserve_vcc 1
		.amdhsa_float_round_mode_32 0
		.amdhsa_float_round_mode_16_64 0
		.amdhsa_float_denorm_mode_32 3
		.amdhsa_float_denorm_mode_16_64 3
		.amdhsa_fp16_overflow 0
		.amdhsa_workgroup_processor_mode 1
		.amdhsa_memory_ordered 1
		.amdhsa_forward_progress 1
		.amdhsa_inst_pref_size 59
		.amdhsa_round_robin_scheduling 0
		.amdhsa_exception_fp_ieee_invalid_op 0
		.amdhsa_exception_fp_denorm_src 0
		.amdhsa_exception_fp_ieee_div_zero 0
		.amdhsa_exception_fp_ieee_overflow 0
		.amdhsa_exception_fp_ieee_underflow 0
		.amdhsa_exception_fp_ieee_inexact 0
		.amdhsa_exception_int_div_zero 0
	.end_amdhsa_kernel
	.section	.text._ZN2ck16kernel_gemm_wmmaINS_17GridwiseGemm_WmmaILi128EaaiiaLNS_25InMemoryDataOperationEnumE0ENS_16TensorDescriptorINS_5TupleIJNS_5EmbedINS4_IJiiEEENS4_IJiNS_17integral_constantIiLi1EEEEEELb0EEENS_8RightPadIiiLb0EEESC_NS_7UnMergeINS4_IJiNS7_IiLi2EEEEEELb0EEENS_11PassThroughIiEEEEENS4_IJNS_8SequenceIJLi0EEEENSK_IJLi1EEEENSK_IJLi2EEEENSK_IJLi4EEEENSK_IJLi3EEEEEEENS4_IJNSK_IJLi1ELi2EEEESP_SO_NSK_IJLi5ELi6EEEENSK_IJLi7EEEEEEENSK_IJLi5ELi7ELi6EEEElEESW_NS3_INS4_IJSA_SC_SC_EEENS4_IJSL_SM_SN_EEENS4_IJSR_SP_SO_EEENSK_IJLi3ELi4EEEElEENS_16tensor_operation12element_wise11PassThroughES14_S14_Li64ELi128ELi64ELi16ELi16ELi2ELi2ELi4ENSK_IJLi4ELi32ELi1EEEENSK_IJLi1ELi0ELi2EEEES16_Li2ELi2ELi2ELb0ELb1ELb1ES15_S16_S16_Li2ELi2ELi2ELb0ELb1ELb1ELi1ELi1ENSK_IJLi1ELi32ELi1ELi4EEEELi8ELi1ELNS_13LoopSchedulerE0ELNS_15PipelineVersionE0EEEaaaSW_SW_NS3_INS4_IJSA_SC_SC_NSD_INS4_IJiNS7_IiLi64EEEEEELb0EEENSD_INS4_IJiNS7_IiLi128EEEEEELb0EEEEEENS4_IJSL_SM_SN_SP_SO_EEENS4_IJSR_SP_SO_SS_NSK_IJLi7ELi8EEEEEEENSK_IJLi5ELi6ELi7ELi8EEEElEES14_S14_S14_NS_31BlockToCTileMap_M00_N0_M01AdaptILi64ELi128ES11_iEELb0EEEvPKT0_PKT1_PT2_T3_T4_T5_T6_T7_T8_T9_,"axG",@progbits,_ZN2ck16kernel_gemm_wmmaINS_17GridwiseGemm_WmmaILi128EaaiiaLNS_25InMemoryDataOperationEnumE0ENS_16TensorDescriptorINS_5TupleIJNS_5EmbedINS4_IJiiEEENS4_IJiNS_17integral_constantIiLi1EEEEEELb0EEENS_8RightPadIiiLb0EEESC_NS_7UnMergeINS4_IJiNS7_IiLi2EEEEEELb0EEENS_11PassThroughIiEEEEENS4_IJNS_8SequenceIJLi0EEEENSK_IJLi1EEEENSK_IJLi2EEEENSK_IJLi4EEEENSK_IJLi3EEEEEEENS4_IJNSK_IJLi1ELi2EEEESP_SO_NSK_IJLi5ELi6EEEENSK_IJLi7EEEEEEENSK_IJLi5ELi7ELi6EEEElEESW_NS3_INS4_IJSA_SC_SC_EEENS4_IJSL_SM_SN_EEENS4_IJSR_SP_SO_EEENSK_IJLi3ELi4EEEElEENS_16tensor_operation12element_wise11PassThroughES14_S14_Li64ELi128ELi64ELi16ELi16ELi2ELi2ELi4ENSK_IJLi4ELi32ELi1EEEENSK_IJLi1ELi0ELi2EEEES16_Li2ELi2ELi2ELb0ELb1ELb1ES15_S16_S16_Li2ELi2ELi2ELb0ELb1ELb1ELi1ELi1ENSK_IJLi1ELi32ELi1ELi4EEEELi8ELi1ELNS_13LoopSchedulerE0ELNS_15PipelineVersionE0EEEaaaSW_SW_NS3_INS4_IJSA_SC_SC_NSD_INS4_IJiNS7_IiLi64EEEEEELb0EEENSD_INS4_IJiNS7_IiLi128EEEEEELb0EEEEEENS4_IJSL_SM_SN_SP_SO_EEENS4_IJSR_SP_SO_SS_NSK_IJLi7ELi8EEEEEEENSK_IJLi5ELi6ELi7ELi8EEEElEES14_S14_S14_NS_31BlockToCTileMap_M00_N0_M01AdaptILi64ELi128ES11_iEELb0EEEvPKT0_PKT1_PT2_T3_T4_T5_T6_T7_T8_T9_,comdat
.Lfunc_end2:
	.size	_ZN2ck16kernel_gemm_wmmaINS_17GridwiseGemm_WmmaILi128EaaiiaLNS_25InMemoryDataOperationEnumE0ENS_16TensorDescriptorINS_5TupleIJNS_5EmbedINS4_IJiiEEENS4_IJiNS_17integral_constantIiLi1EEEEEELb0EEENS_8RightPadIiiLb0EEESC_NS_7UnMergeINS4_IJiNS7_IiLi2EEEEEELb0EEENS_11PassThroughIiEEEEENS4_IJNS_8SequenceIJLi0EEEENSK_IJLi1EEEENSK_IJLi2EEEENSK_IJLi4EEEENSK_IJLi3EEEEEEENS4_IJNSK_IJLi1ELi2EEEESP_SO_NSK_IJLi5ELi6EEEENSK_IJLi7EEEEEEENSK_IJLi5ELi7ELi6EEEElEESW_NS3_INS4_IJSA_SC_SC_EEENS4_IJSL_SM_SN_EEENS4_IJSR_SP_SO_EEENSK_IJLi3ELi4EEEElEENS_16tensor_operation12element_wise11PassThroughES14_S14_Li64ELi128ELi64ELi16ELi16ELi2ELi2ELi4ENSK_IJLi4ELi32ELi1EEEENSK_IJLi1ELi0ELi2EEEES16_Li2ELi2ELi2ELb0ELb1ELb1ES15_S16_S16_Li2ELi2ELi2ELb0ELb1ELb1ELi1ELi1ENSK_IJLi1ELi32ELi1ELi4EEEELi8ELi1ELNS_13LoopSchedulerE0ELNS_15PipelineVersionE0EEEaaaSW_SW_NS3_INS4_IJSA_SC_SC_NSD_INS4_IJiNS7_IiLi64EEEEEELb0EEENSD_INS4_IJiNS7_IiLi128EEEEEELb0EEEEEENS4_IJSL_SM_SN_SP_SO_EEENS4_IJSR_SP_SO_SS_NSK_IJLi7ELi8EEEEEEENSK_IJLi5ELi6ELi7ELi8EEEElEES14_S14_S14_NS_31BlockToCTileMap_M00_N0_M01AdaptILi64ELi128ES11_iEELb0EEEvPKT0_PKT1_PT2_T3_T4_T5_T6_T7_T8_T9_, .Lfunc_end2-_ZN2ck16kernel_gemm_wmmaINS_17GridwiseGemm_WmmaILi128EaaiiaLNS_25InMemoryDataOperationEnumE0ENS_16TensorDescriptorINS_5TupleIJNS_5EmbedINS4_IJiiEEENS4_IJiNS_17integral_constantIiLi1EEEEEELb0EEENS_8RightPadIiiLb0EEESC_NS_7UnMergeINS4_IJiNS7_IiLi2EEEEEELb0EEENS_11PassThroughIiEEEEENS4_IJNS_8SequenceIJLi0EEEENSK_IJLi1EEEENSK_IJLi2EEEENSK_IJLi4EEEENSK_IJLi3EEEEEEENS4_IJNSK_IJLi1ELi2EEEESP_SO_NSK_IJLi5ELi6EEEENSK_IJLi7EEEEEEENSK_IJLi5ELi7ELi6EEEElEESW_NS3_INS4_IJSA_SC_SC_EEENS4_IJSL_SM_SN_EEENS4_IJSR_SP_SO_EEENSK_IJLi3ELi4EEEElEENS_16tensor_operation12element_wise11PassThroughES14_S14_Li64ELi128ELi64ELi16ELi16ELi2ELi2ELi4ENSK_IJLi4ELi32ELi1EEEENSK_IJLi1ELi0ELi2EEEES16_Li2ELi2ELi2ELb0ELb1ELb1ES15_S16_S16_Li2ELi2ELi2ELb0ELb1ELb1ELi1ELi1ENSK_IJLi1ELi32ELi1ELi4EEEELi8ELi1ELNS_13LoopSchedulerE0ELNS_15PipelineVersionE0EEEaaaSW_SW_NS3_INS4_IJSA_SC_SC_NSD_INS4_IJiNS7_IiLi64EEEEEELb0EEENSD_INS4_IJiNS7_IiLi128EEEEEELb0EEEEEENS4_IJSL_SM_SN_SP_SO_EEENS4_IJSR_SP_SO_SS_NSK_IJLi7ELi8EEEEEEENSK_IJLi5ELi6ELi7ELi8EEEElEES14_S14_S14_NS_31BlockToCTileMap_M00_N0_M01AdaptILi64ELi128ES11_iEELb0EEEvPKT0_PKT1_PT2_T3_T4_T5_T6_T7_T8_T9_
                                        ; -- End function
	.set _ZN2ck16kernel_gemm_wmmaINS_17GridwiseGemm_WmmaILi128EaaiiaLNS_25InMemoryDataOperationEnumE0ENS_16TensorDescriptorINS_5TupleIJNS_5EmbedINS4_IJiiEEENS4_IJiNS_17integral_constantIiLi1EEEEEELb0EEENS_8RightPadIiiLb0EEESC_NS_7UnMergeINS4_IJiNS7_IiLi2EEEEEELb0EEENS_11PassThroughIiEEEEENS4_IJNS_8SequenceIJLi0EEEENSK_IJLi1EEEENSK_IJLi2EEEENSK_IJLi4EEEENSK_IJLi3EEEEEEENS4_IJNSK_IJLi1ELi2EEEESP_SO_NSK_IJLi5ELi6EEEENSK_IJLi7EEEEEEENSK_IJLi5ELi7ELi6EEEElEESW_NS3_INS4_IJSA_SC_SC_EEENS4_IJSL_SM_SN_EEENS4_IJSR_SP_SO_EEENSK_IJLi3ELi4EEEElEENS_16tensor_operation12element_wise11PassThroughES14_S14_Li64ELi128ELi64ELi16ELi16ELi2ELi2ELi4ENSK_IJLi4ELi32ELi1EEEENSK_IJLi1ELi0ELi2EEEES16_Li2ELi2ELi2ELb0ELb1ELb1ES15_S16_S16_Li2ELi2ELi2ELb0ELb1ELb1ELi1ELi1ENSK_IJLi1ELi32ELi1ELi4EEEELi8ELi1ELNS_13LoopSchedulerE0ELNS_15PipelineVersionE0EEEaaaSW_SW_NS3_INS4_IJSA_SC_SC_NSD_INS4_IJiNS7_IiLi64EEEEEELb0EEENSD_INS4_IJiNS7_IiLi128EEEEEELb0EEEEEENS4_IJSL_SM_SN_SP_SO_EEENS4_IJSR_SP_SO_SS_NSK_IJLi7ELi8EEEEEEENSK_IJLi5ELi6ELi7ELi8EEEElEES14_S14_S14_NS_31BlockToCTileMap_M00_N0_M01AdaptILi64ELi128ES11_iEELb0EEEvPKT0_PKT1_PT2_T3_T4_T5_T6_T7_T8_T9_.num_vgpr, 82
	.set _ZN2ck16kernel_gemm_wmmaINS_17GridwiseGemm_WmmaILi128EaaiiaLNS_25InMemoryDataOperationEnumE0ENS_16TensorDescriptorINS_5TupleIJNS_5EmbedINS4_IJiiEEENS4_IJiNS_17integral_constantIiLi1EEEEEELb0EEENS_8RightPadIiiLb0EEESC_NS_7UnMergeINS4_IJiNS7_IiLi2EEEEEELb0EEENS_11PassThroughIiEEEEENS4_IJNS_8SequenceIJLi0EEEENSK_IJLi1EEEENSK_IJLi2EEEENSK_IJLi4EEEENSK_IJLi3EEEEEEENS4_IJNSK_IJLi1ELi2EEEESP_SO_NSK_IJLi5ELi6EEEENSK_IJLi7EEEEEEENSK_IJLi5ELi7ELi6EEEElEESW_NS3_INS4_IJSA_SC_SC_EEENS4_IJSL_SM_SN_EEENS4_IJSR_SP_SO_EEENSK_IJLi3ELi4EEEElEENS_16tensor_operation12element_wise11PassThroughES14_S14_Li64ELi128ELi64ELi16ELi16ELi2ELi2ELi4ENSK_IJLi4ELi32ELi1EEEENSK_IJLi1ELi0ELi2EEEES16_Li2ELi2ELi2ELb0ELb1ELb1ES15_S16_S16_Li2ELi2ELi2ELb0ELb1ELb1ELi1ELi1ENSK_IJLi1ELi32ELi1ELi4EEEELi8ELi1ELNS_13LoopSchedulerE0ELNS_15PipelineVersionE0EEEaaaSW_SW_NS3_INS4_IJSA_SC_SC_NSD_INS4_IJiNS7_IiLi64EEEEEELb0EEENSD_INS4_IJiNS7_IiLi128EEEEEELb0EEEEEENS4_IJSL_SM_SN_SP_SO_EEENS4_IJSR_SP_SO_SS_NSK_IJLi7ELi8EEEEEEENSK_IJLi5ELi6ELi7ELi8EEEElEES14_S14_S14_NS_31BlockToCTileMap_M00_N0_M01AdaptILi64ELi128ES11_iEELb0EEEvPKT0_PKT1_PT2_T3_T4_T5_T6_T7_T8_T9_.num_agpr, 0
	.set _ZN2ck16kernel_gemm_wmmaINS_17GridwiseGemm_WmmaILi128EaaiiaLNS_25InMemoryDataOperationEnumE0ENS_16TensorDescriptorINS_5TupleIJNS_5EmbedINS4_IJiiEEENS4_IJiNS_17integral_constantIiLi1EEEEEELb0EEENS_8RightPadIiiLb0EEESC_NS_7UnMergeINS4_IJiNS7_IiLi2EEEEEELb0EEENS_11PassThroughIiEEEEENS4_IJNS_8SequenceIJLi0EEEENSK_IJLi1EEEENSK_IJLi2EEEENSK_IJLi4EEEENSK_IJLi3EEEEEEENS4_IJNSK_IJLi1ELi2EEEESP_SO_NSK_IJLi5ELi6EEEENSK_IJLi7EEEEEEENSK_IJLi5ELi7ELi6EEEElEESW_NS3_INS4_IJSA_SC_SC_EEENS4_IJSL_SM_SN_EEENS4_IJSR_SP_SO_EEENSK_IJLi3ELi4EEEElEENS_16tensor_operation12element_wise11PassThroughES14_S14_Li64ELi128ELi64ELi16ELi16ELi2ELi2ELi4ENSK_IJLi4ELi32ELi1EEEENSK_IJLi1ELi0ELi2EEEES16_Li2ELi2ELi2ELb0ELb1ELb1ES15_S16_S16_Li2ELi2ELi2ELb0ELb1ELb1ELi1ELi1ENSK_IJLi1ELi32ELi1ELi4EEEELi8ELi1ELNS_13LoopSchedulerE0ELNS_15PipelineVersionE0EEEaaaSW_SW_NS3_INS4_IJSA_SC_SC_NSD_INS4_IJiNS7_IiLi64EEEEEELb0EEENSD_INS4_IJiNS7_IiLi128EEEEEELb0EEEEEENS4_IJSL_SM_SN_SP_SO_EEENS4_IJSR_SP_SO_SS_NSK_IJLi7ELi8EEEEEEENSK_IJLi5ELi6ELi7ELi8EEEElEES14_S14_S14_NS_31BlockToCTileMap_M00_N0_M01AdaptILi64ELi128ES11_iEELb0EEEvPKT0_PKT1_PT2_T3_T4_T5_T6_T7_T8_T9_.numbered_sgpr, 32
	.set _ZN2ck16kernel_gemm_wmmaINS_17GridwiseGemm_WmmaILi128EaaiiaLNS_25InMemoryDataOperationEnumE0ENS_16TensorDescriptorINS_5TupleIJNS_5EmbedINS4_IJiiEEENS4_IJiNS_17integral_constantIiLi1EEEEEELb0EEENS_8RightPadIiiLb0EEESC_NS_7UnMergeINS4_IJiNS7_IiLi2EEEEEELb0EEENS_11PassThroughIiEEEEENS4_IJNS_8SequenceIJLi0EEEENSK_IJLi1EEEENSK_IJLi2EEEENSK_IJLi4EEEENSK_IJLi3EEEEEEENS4_IJNSK_IJLi1ELi2EEEESP_SO_NSK_IJLi5ELi6EEEENSK_IJLi7EEEEEEENSK_IJLi5ELi7ELi6EEEElEESW_NS3_INS4_IJSA_SC_SC_EEENS4_IJSL_SM_SN_EEENS4_IJSR_SP_SO_EEENSK_IJLi3ELi4EEEElEENS_16tensor_operation12element_wise11PassThroughES14_S14_Li64ELi128ELi64ELi16ELi16ELi2ELi2ELi4ENSK_IJLi4ELi32ELi1EEEENSK_IJLi1ELi0ELi2EEEES16_Li2ELi2ELi2ELb0ELb1ELb1ES15_S16_S16_Li2ELi2ELi2ELb0ELb1ELb1ELi1ELi1ENSK_IJLi1ELi32ELi1ELi4EEEELi8ELi1ELNS_13LoopSchedulerE0ELNS_15PipelineVersionE0EEEaaaSW_SW_NS3_INS4_IJSA_SC_SC_NSD_INS4_IJiNS7_IiLi64EEEEEELb0EEENSD_INS4_IJiNS7_IiLi128EEEEEELb0EEEEEENS4_IJSL_SM_SN_SP_SO_EEENS4_IJSR_SP_SO_SS_NSK_IJLi7ELi8EEEEEEENSK_IJLi5ELi6ELi7ELi8EEEElEES14_S14_S14_NS_31BlockToCTileMap_M00_N0_M01AdaptILi64ELi128ES11_iEELb0EEEvPKT0_PKT1_PT2_T3_T4_T5_T6_T7_T8_T9_.num_named_barrier, 0
	.set _ZN2ck16kernel_gemm_wmmaINS_17GridwiseGemm_WmmaILi128EaaiiaLNS_25InMemoryDataOperationEnumE0ENS_16TensorDescriptorINS_5TupleIJNS_5EmbedINS4_IJiiEEENS4_IJiNS_17integral_constantIiLi1EEEEEELb0EEENS_8RightPadIiiLb0EEESC_NS_7UnMergeINS4_IJiNS7_IiLi2EEEEEELb0EEENS_11PassThroughIiEEEEENS4_IJNS_8SequenceIJLi0EEEENSK_IJLi1EEEENSK_IJLi2EEEENSK_IJLi4EEEENSK_IJLi3EEEEEEENS4_IJNSK_IJLi1ELi2EEEESP_SO_NSK_IJLi5ELi6EEEENSK_IJLi7EEEEEEENSK_IJLi5ELi7ELi6EEEElEESW_NS3_INS4_IJSA_SC_SC_EEENS4_IJSL_SM_SN_EEENS4_IJSR_SP_SO_EEENSK_IJLi3ELi4EEEElEENS_16tensor_operation12element_wise11PassThroughES14_S14_Li64ELi128ELi64ELi16ELi16ELi2ELi2ELi4ENSK_IJLi4ELi32ELi1EEEENSK_IJLi1ELi0ELi2EEEES16_Li2ELi2ELi2ELb0ELb1ELb1ES15_S16_S16_Li2ELi2ELi2ELb0ELb1ELb1ELi1ELi1ENSK_IJLi1ELi32ELi1ELi4EEEELi8ELi1ELNS_13LoopSchedulerE0ELNS_15PipelineVersionE0EEEaaaSW_SW_NS3_INS4_IJSA_SC_SC_NSD_INS4_IJiNS7_IiLi64EEEEEELb0EEENSD_INS4_IJiNS7_IiLi128EEEEEELb0EEEEEENS4_IJSL_SM_SN_SP_SO_EEENS4_IJSR_SP_SO_SS_NSK_IJLi7ELi8EEEEEEENSK_IJLi5ELi6ELi7ELi8EEEElEES14_S14_S14_NS_31BlockToCTileMap_M00_N0_M01AdaptILi64ELi128ES11_iEELb0EEEvPKT0_PKT1_PT2_T3_T4_T5_T6_T7_T8_T9_.private_seg_size, 0
	.set _ZN2ck16kernel_gemm_wmmaINS_17GridwiseGemm_WmmaILi128EaaiiaLNS_25InMemoryDataOperationEnumE0ENS_16TensorDescriptorINS_5TupleIJNS_5EmbedINS4_IJiiEEENS4_IJiNS_17integral_constantIiLi1EEEEEELb0EEENS_8RightPadIiiLb0EEESC_NS_7UnMergeINS4_IJiNS7_IiLi2EEEEEELb0EEENS_11PassThroughIiEEEEENS4_IJNS_8SequenceIJLi0EEEENSK_IJLi1EEEENSK_IJLi2EEEENSK_IJLi4EEEENSK_IJLi3EEEEEEENS4_IJNSK_IJLi1ELi2EEEESP_SO_NSK_IJLi5ELi6EEEENSK_IJLi7EEEEEEENSK_IJLi5ELi7ELi6EEEElEESW_NS3_INS4_IJSA_SC_SC_EEENS4_IJSL_SM_SN_EEENS4_IJSR_SP_SO_EEENSK_IJLi3ELi4EEEElEENS_16tensor_operation12element_wise11PassThroughES14_S14_Li64ELi128ELi64ELi16ELi16ELi2ELi2ELi4ENSK_IJLi4ELi32ELi1EEEENSK_IJLi1ELi0ELi2EEEES16_Li2ELi2ELi2ELb0ELb1ELb1ES15_S16_S16_Li2ELi2ELi2ELb0ELb1ELb1ELi1ELi1ENSK_IJLi1ELi32ELi1ELi4EEEELi8ELi1ELNS_13LoopSchedulerE0ELNS_15PipelineVersionE0EEEaaaSW_SW_NS3_INS4_IJSA_SC_SC_NSD_INS4_IJiNS7_IiLi64EEEEEELb0EEENSD_INS4_IJiNS7_IiLi128EEEEEELb0EEEEEENS4_IJSL_SM_SN_SP_SO_EEENS4_IJSR_SP_SO_SS_NSK_IJLi7ELi8EEEEEEENSK_IJLi5ELi6ELi7ELi8EEEElEES14_S14_S14_NS_31BlockToCTileMap_M00_N0_M01AdaptILi64ELi128ES11_iEELb0EEEvPKT0_PKT1_PT2_T3_T4_T5_T6_T7_T8_T9_.uses_vcc, 1
	.set _ZN2ck16kernel_gemm_wmmaINS_17GridwiseGemm_WmmaILi128EaaiiaLNS_25InMemoryDataOperationEnumE0ENS_16TensorDescriptorINS_5TupleIJNS_5EmbedINS4_IJiiEEENS4_IJiNS_17integral_constantIiLi1EEEEEELb0EEENS_8RightPadIiiLb0EEESC_NS_7UnMergeINS4_IJiNS7_IiLi2EEEEEELb0EEENS_11PassThroughIiEEEEENS4_IJNS_8SequenceIJLi0EEEENSK_IJLi1EEEENSK_IJLi2EEEENSK_IJLi4EEEENSK_IJLi3EEEEEEENS4_IJNSK_IJLi1ELi2EEEESP_SO_NSK_IJLi5ELi6EEEENSK_IJLi7EEEEEEENSK_IJLi5ELi7ELi6EEEElEESW_NS3_INS4_IJSA_SC_SC_EEENS4_IJSL_SM_SN_EEENS4_IJSR_SP_SO_EEENSK_IJLi3ELi4EEEElEENS_16tensor_operation12element_wise11PassThroughES14_S14_Li64ELi128ELi64ELi16ELi16ELi2ELi2ELi4ENSK_IJLi4ELi32ELi1EEEENSK_IJLi1ELi0ELi2EEEES16_Li2ELi2ELi2ELb0ELb1ELb1ES15_S16_S16_Li2ELi2ELi2ELb0ELb1ELb1ELi1ELi1ENSK_IJLi1ELi32ELi1ELi4EEEELi8ELi1ELNS_13LoopSchedulerE0ELNS_15PipelineVersionE0EEEaaaSW_SW_NS3_INS4_IJSA_SC_SC_NSD_INS4_IJiNS7_IiLi64EEEEEELb0EEENSD_INS4_IJiNS7_IiLi128EEEEEELb0EEEEEENS4_IJSL_SM_SN_SP_SO_EEENS4_IJSR_SP_SO_SS_NSK_IJLi7ELi8EEEEEEENSK_IJLi5ELi6ELi7ELi8EEEElEES14_S14_S14_NS_31BlockToCTileMap_M00_N0_M01AdaptILi64ELi128ES11_iEELb0EEEvPKT0_PKT1_PT2_T3_T4_T5_T6_T7_T8_T9_.uses_flat_scratch, 0
	.set _ZN2ck16kernel_gemm_wmmaINS_17GridwiseGemm_WmmaILi128EaaiiaLNS_25InMemoryDataOperationEnumE0ENS_16TensorDescriptorINS_5TupleIJNS_5EmbedINS4_IJiiEEENS4_IJiNS_17integral_constantIiLi1EEEEEELb0EEENS_8RightPadIiiLb0EEESC_NS_7UnMergeINS4_IJiNS7_IiLi2EEEEEELb0EEENS_11PassThroughIiEEEEENS4_IJNS_8SequenceIJLi0EEEENSK_IJLi1EEEENSK_IJLi2EEEENSK_IJLi4EEEENSK_IJLi3EEEEEEENS4_IJNSK_IJLi1ELi2EEEESP_SO_NSK_IJLi5ELi6EEEENSK_IJLi7EEEEEEENSK_IJLi5ELi7ELi6EEEElEESW_NS3_INS4_IJSA_SC_SC_EEENS4_IJSL_SM_SN_EEENS4_IJSR_SP_SO_EEENSK_IJLi3ELi4EEEElEENS_16tensor_operation12element_wise11PassThroughES14_S14_Li64ELi128ELi64ELi16ELi16ELi2ELi2ELi4ENSK_IJLi4ELi32ELi1EEEENSK_IJLi1ELi0ELi2EEEES16_Li2ELi2ELi2ELb0ELb1ELb1ES15_S16_S16_Li2ELi2ELi2ELb0ELb1ELb1ELi1ELi1ENSK_IJLi1ELi32ELi1ELi4EEEELi8ELi1ELNS_13LoopSchedulerE0ELNS_15PipelineVersionE0EEEaaaSW_SW_NS3_INS4_IJSA_SC_SC_NSD_INS4_IJiNS7_IiLi64EEEEEELb0EEENSD_INS4_IJiNS7_IiLi128EEEEEELb0EEEEEENS4_IJSL_SM_SN_SP_SO_EEENS4_IJSR_SP_SO_SS_NSK_IJLi7ELi8EEEEEEENSK_IJLi5ELi6ELi7ELi8EEEElEES14_S14_S14_NS_31BlockToCTileMap_M00_N0_M01AdaptILi64ELi128ES11_iEELb0EEEvPKT0_PKT1_PT2_T3_T4_T5_T6_T7_T8_T9_.has_dyn_sized_stack, 0
	.set _ZN2ck16kernel_gemm_wmmaINS_17GridwiseGemm_WmmaILi128EaaiiaLNS_25InMemoryDataOperationEnumE0ENS_16TensorDescriptorINS_5TupleIJNS_5EmbedINS4_IJiiEEENS4_IJiNS_17integral_constantIiLi1EEEEEELb0EEENS_8RightPadIiiLb0EEESC_NS_7UnMergeINS4_IJiNS7_IiLi2EEEEEELb0EEENS_11PassThroughIiEEEEENS4_IJNS_8SequenceIJLi0EEEENSK_IJLi1EEEENSK_IJLi2EEEENSK_IJLi4EEEENSK_IJLi3EEEEEEENS4_IJNSK_IJLi1ELi2EEEESP_SO_NSK_IJLi5ELi6EEEENSK_IJLi7EEEEEEENSK_IJLi5ELi7ELi6EEEElEESW_NS3_INS4_IJSA_SC_SC_EEENS4_IJSL_SM_SN_EEENS4_IJSR_SP_SO_EEENSK_IJLi3ELi4EEEElEENS_16tensor_operation12element_wise11PassThroughES14_S14_Li64ELi128ELi64ELi16ELi16ELi2ELi2ELi4ENSK_IJLi4ELi32ELi1EEEENSK_IJLi1ELi0ELi2EEEES16_Li2ELi2ELi2ELb0ELb1ELb1ES15_S16_S16_Li2ELi2ELi2ELb0ELb1ELb1ELi1ELi1ENSK_IJLi1ELi32ELi1ELi4EEEELi8ELi1ELNS_13LoopSchedulerE0ELNS_15PipelineVersionE0EEEaaaSW_SW_NS3_INS4_IJSA_SC_SC_NSD_INS4_IJiNS7_IiLi64EEEEEELb0EEENSD_INS4_IJiNS7_IiLi128EEEEEELb0EEEEEENS4_IJSL_SM_SN_SP_SO_EEENS4_IJSR_SP_SO_SS_NSK_IJLi7ELi8EEEEEEENSK_IJLi5ELi6ELi7ELi8EEEElEES14_S14_S14_NS_31BlockToCTileMap_M00_N0_M01AdaptILi64ELi128ES11_iEELb0EEEvPKT0_PKT1_PT2_T3_T4_T5_T6_T7_T8_T9_.has_recursion, 0
	.set _ZN2ck16kernel_gemm_wmmaINS_17GridwiseGemm_WmmaILi128EaaiiaLNS_25InMemoryDataOperationEnumE0ENS_16TensorDescriptorINS_5TupleIJNS_5EmbedINS4_IJiiEEENS4_IJiNS_17integral_constantIiLi1EEEEEELb0EEENS_8RightPadIiiLb0EEESC_NS_7UnMergeINS4_IJiNS7_IiLi2EEEEEELb0EEENS_11PassThroughIiEEEEENS4_IJNS_8SequenceIJLi0EEEENSK_IJLi1EEEENSK_IJLi2EEEENSK_IJLi4EEEENSK_IJLi3EEEEEEENS4_IJNSK_IJLi1ELi2EEEESP_SO_NSK_IJLi5ELi6EEEENSK_IJLi7EEEEEEENSK_IJLi5ELi7ELi6EEEElEESW_NS3_INS4_IJSA_SC_SC_EEENS4_IJSL_SM_SN_EEENS4_IJSR_SP_SO_EEENSK_IJLi3ELi4EEEElEENS_16tensor_operation12element_wise11PassThroughES14_S14_Li64ELi128ELi64ELi16ELi16ELi2ELi2ELi4ENSK_IJLi4ELi32ELi1EEEENSK_IJLi1ELi0ELi2EEEES16_Li2ELi2ELi2ELb0ELb1ELb1ES15_S16_S16_Li2ELi2ELi2ELb0ELb1ELb1ELi1ELi1ENSK_IJLi1ELi32ELi1ELi4EEEELi8ELi1ELNS_13LoopSchedulerE0ELNS_15PipelineVersionE0EEEaaaSW_SW_NS3_INS4_IJSA_SC_SC_NSD_INS4_IJiNS7_IiLi64EEEEEELb0EEENSD_INS4_IJiNS7_IiLi128EEEEEELb0EEEEEENS4_IJSL_SM_SN_SP_SO_EEENS4_IJSR_SP_SO_SS_NSK_IJLi7ELi8EEEEEEENSK_IJLi5ELi6ELi7ELi8EEEElEES14_S14_S14_NS_31BlockToCTileMap_M00_N0_M01AdaptILi64ELi128ES11_iEELb0EEEvPKT0_PKT1_PT2_T3_T4_T5_T6_T7_T8_T9_.has_indirect_call, 0
	.section	.AMDGPU.csdata,"",@progbits
; Kernel info:
; codeLenInByte = 7444
; TotalNumSgprs: 34
; NumVgprs: 82
; ScratchSize: 0
; MemoryBound: 0
; FloatMode: 240
; IeeeMode: 1
; LDSByteSize: 12412 bytes/workgroup (compile time only)
; SGPRBlocks: 0
; VGPRBlocks: 10
; NumSGPRsForWavesPerEU: 34
; NumVGPRsForWavesPerEU: 82
; Occupancy: 16
; WaveLimiterHint : 0
; COMPUTE_PGM_RSRC2:SCRATCH_EN: 0
; COMPUTE_PGM_RSRC2:USER_SGPR: 2
; COMPUTE_PGM_RSRC2:TRAP_HANDLER: 0
; COMPUTE_PGM_RSRC2:TGID_X_EN: 1
; COMPUTE_PGM_RSRC2:TGID_Y_EN: 0
; COMPUTE_PGM_RSRC2:TGID_Z_EN: 0
; COMPUTE_PGM_RSRC2:TIDIG_COMP_CNT: 0
	.section	.text._ZN2ck17naive_gemm_kernelINS_13tensor_layout4gemm8RowMajorENS2_11ColumnMajorES3_aaaiNS_16tensor_operation12element_wise11PassThroughES7_S7_aaEEvPKT2_PKT3_PT4_iiiT6_T7_T8_,"axG",@progbits,_ZN2ck17naive_gemm_kernelINS_13tensor_layout4gemm8RowMajorENS2_11ColumnMajorES3_aaaiNS_16tensor_operation12element_wise11PassThroughES7_S7_aaEEvPKT2_PKT3_PT4_iiiT6_T7_T8_,comdat
	.protected	_ZN2ck17naive_gemm_kernelINS_13tensor_layout4gemm8RowMajorENS2_11ColumnMajorES3_aaaiNS_16tensor_operation12element_wise11PassThroughES7_S7_aaEEvPKT2_PKT3_PT4_iiiT6_T7_T8_ ; -- Begin function _ZN2ck17naive_gemm_kernelINS_13tensor_layout4gemm8RowMajorENS2_11ColumnMajorES3_aaaiNS_16tensor_operation12element_wise11PassThroughES7_S7_aaEEvPKT2_PKT3_PT4_iiiT6_T7_T8_
	.globl	_ZN2ck17naive_gemm_kernelINS_13tensor_layout4gemm8RowMajorENS2_11ColumnMajorES3_aaaiNS_16tensor_operation12element_wise11PassThroughES7_S7_aaEEvPKT2_PKT3_PT4_iiiT6_T7_T8_
	.p2align	8
	.type	_ZN2ck17naive_gemm_kernelINS_13tensor_layout4gemm8RowMajorENS2_11ColumnMajorES3_aaaiNS_16tensor_operation12element_wise11PassThroughES7_S7_aaEEvPKT2_PKT3_PT4_iiiT6_T7_T8_,@function
_ZN2ck17naive_gemm_kernelINS_13tensor_layout4gemm8RowMajorENS2_11ColumnMajorES3_aaaiNS_16tensor_operation12element_wise11PassThroughES7_S7_aaEEvPKT2_PKT3_PT4_iiiT6_T7_T8_: ; @_ZN2ck17naive_gemm_kernelINS_13tensor_layout4gemm8RowMajorENS2_11ColumnMajorES3_aaaiNS_16tensor_operation12element_wise11PassThroughES7_S7_aaEEvPKT2_PKT3_PT4_iiiT6_T7_T8_
; %bb.0:
	s_clause 0x1
	s_load_b32 s2, s[0:1], 0x34
	s_load_b96 s[4:6], s[0:1], 0x18
	v_and_b32_e32 v1, 0x3ff, v0
	v_bfe_u32 v2, v0, 10, 10
	s_wait_kmcnt 0x0
	s_lshr_b32 s3, s2, 16
	s_and_b32 s2, s2, 0xffff
	s_delay_alu instid0(VALU_DEP_1) | instid1(SALU_CYCLE_1)
	v_mad_co_u64_u32 v[0:1], null, ttmp9, s2, v[1:2]
	v_mad_co_u64_u32 v[1:2], null, ttmp7, s3, v[2:3]
	s_delay_alu instid0(VALU_DEP_2) | instskip(NEXT) | instid1(VALU_DEP_2)
	v_cmp_gt_i32_e32 vcc_lo, s4, v0
	v_cmp_gt_i32_e64 s2, s5, v1
	s_and_b32 s2, vcc_lo, s2
	s_wait_alu 0xfffe
	s_and_saveexec_b32 s3, s2
	s_cbranch_execz .LBB3_6
; %bb.1:
	s_load_b64 s[2:3], s[0:1], 0x10
	s_cmp_lt_i32 s6, 1
	s_cbranch_scc1 .LBB3_4
; %bb.2:
	s_load_b128 s[8:11], s[0:1], 0x0
	v_mul_lo_u32 v2, v1, s6
	v_mul_lo_u32 v4, v0, s6
	v_mov_b32_e32 v6, 0
	s_delay_alu instid0(VALU_DEP_3) | instskip(NEXT) | instid1(VALU_DEP_3)
	v_ashrrev_i32_e32 v3, 31, v2
	v_ashrrev_i32_e32 v5, 31, v4
	s_wait_kmcnt 0x0
	v_add_co_u32 v2, vcc_lo, s10, v2
	s_delay_alu instid0(VALU_DEP_1)
	v_add_co_ci_u32_e64 v3, null, s11, v3, vcc_lo
	v_add_co_u32 v4, vcc_lo, s8, v4
	s_wait_alu 0xfffd
	v_add_co_ci_u32_e64 v5, null, s9, v5, vcc_lo
.LBB3_3:                                ; =>This Inner Loop Header: Depth=1
	global_load_u8 v7, v[4:5], off
	global_load_u8 v8, v[2:3], off
	v_add_co_u32 v2, vcc_lo, v2, 1
	s_wait_alu 0xfffd
	v_add_co_ci_u32_e64 v3, null, 0, v3, vcc_lo
	v_add_co_u32 v4, vcc_lo, v4, 1
	s_wait_alu 0xfffd
	v_add_co_ci_u32_e64 v5, null, 0, v5, vcc_lo
	s_add_co_i32 s6, s6, -1
	s_wait_alu 0xfffe
	s_cmp_eq_u32 s6, 0
	s_wait_loadcnt 0x0
	v_mad_u32_u24 v6, v8, v7, v6
	s_cbranch_scc0 .LBB3_3
	s_branch .LBB3_5
.LBB3_4:
	v_mov_b32_e32 v6, 0
.LBB3_5:
	v_mad_co_u64_u32 v[0:1], null, v0, s5, v[1:2]
	s_delay_alu instid0(VALU_DEP_1) | instskip(SKIP_3) | instid1(VALU_DEP_2)
	v_ashrrev_i32_e32 v1, 31, v0
	s_wait_kmcnt 0x0
	v_add_co_u32 v0, vcc_lo, s2, v0
	s_wait_alu 0xfffd
	v_add_co_ci_u32_e64 v1, null, s3, v1, vcc_lo
	global_store_b8 v[0:1], v6, off
.LBB3_6:
	s_endpgm
	.section	.rodata,"a",@progbits
	.p2align	6, 0x0
	.amdhsa_kernel _ZN2ck17naive_gemm_kernelINS_13tensor_layout4gemm8RowMajorENS2_11ColumnMajorES3_aaaiNS_16tensor_operation12element_wise11PassThroughES7_S7_aaEEvPKT2_PKT3_PT4_iiiT6_T7_T8_
		.amdhsa_group_segment_fixed_size 0
		.amdhsa_private_segment_fixed_size 0
		.amdhsa_kernarg_size 296
		.amdhsa_user_sgpr_count 2
		.amdhsa_user_sgpr_dispatch_ptr 0
		.amdhsa_user_sgpr_queue_ptr 0
		.amdhsa_user_sgpr_kernarg_segment_ptr 1
		.amdhsa_user_sgpr_dispatch_id 0
		.amdhsa_user_sgpr_private_segment_size 0
		.amdhsa_wavefront_size32 1
		.amdhsa_uses_dynamic_stack 0
		.amdhsa_enable_private_segment 0
		.amdhsa_system_sgpr_workgroup_id_x 1
		.amdhsa_system_sgpr_workgroup_id_y 1
		.amdhsa_system_sgpr_workgroup_id_z 0
		.amdhsa_system_sgpr_workgroup_info 0
		.amdhsa_system_vgpr_workitem_id 1
		.amdhsa_next_free_vgpr 9
		.amdhsa_next_free_sgpr 12
		.amdhsa_reserve_vcc 1
		.amdhsa_float_round_mode_32 0
		.amdhsa_float_round_mode_16_64 0
		.amdhsa_float_denorm_mode_32 3
		.amdhsa_float_denorm_mode_16_64 3
		.amdhsa_fp16_overflow 0
		.amdhsa_workgroup_processor_mode 1
		.amdhsa_memory_ordered 1
		.amdhsa_forward_progress 1
		.amdhsa_inst_pref_size 3
		.amdhsa_round_robin_scheduling 0
		.amdhsa_exception_fp_ieee_invalid_op 0
		.amdhsa_exception_fp_denorm_src 0
		.amdhsa_exception_fp_ieee_div_zero 0
		.amdhsa_exception_fp_ieee_overflow 0
		.amdhsa_exception_fp_ieee_underflow 0
		.amdhsa_exception_fp_ieee_inexact 0
		.amdhsa_exception_int_div_zero 0
	.end_amdhsa_kernel
	.section	.text._ZN2ck17naive_gemm_kernelINS_13tensor_layout4gemm8RowMajorENS2_11ColumnMajorES3_aaaiNS_16tensor_operation12element_wise11PassThroughES7_S7_aaEEvPKT2_PKT3_PT4_iiiT6_T7_T8_,"axG",@progbits,_ZN2ck17naive_gemm_kernelINS_13tensor_layout4gemm8RowMajorENS2_11ColumnMajorES3_aaaiNS_16tensor_operation12element_wise11PassThroughES7_S7_aaEEvPKT2_PKT3_PT4_iiiT6_T7_T8_,comdat
.Lfunc_end3:
	.size	_ZN2ck17naive_gemm_kernelINS_13tensor_layout4gemm8RowMajorENS2_11ColumnMajorES3_aaaiNS_16tensor_operation12element_wise11PassThroughES7_S7_aaEEvPKT2_PKT3_PT4_iiiT6_T7_T8_, .Lfunc_end3-_ZN2ck17naive_gemm_kernelINS_13tensor_layout4gemm8RowMajorENS2_11ColumnMajorES3_aaaiNS_16tensor_operation12element_wise11PassThroughES7_S7_aaEEvPKT2_PKT3_PT4_iiiT6_T7_T8_
                                        ; -- End function
	.set _ZN2ck17naive_gemm_kernelINS_13tensor_layout4gemm8RowMajorENS2_11ColumnMajorES3_aaaiNS_16tensor_operation12element_wise11PassThroughES7_S7_aaEEvPKT2_PKT3_PT4_iiiT6_T7_T8_.num_vgpr, 9
	.set _ZN2ck17naive_gemm_kernelINS_13tensor_layout4gemm8RowMajorENS2_11ColumnMajorES3_aaaiNS_16tensor_operation12element_wise11PassThroughES7_S7_aaEEvPKT2_PKT3_PT4_iiiT6_T7_T8_.num_agpr, 0
	.set _ZN2ck17naive_gemm_kernelINS_13tensor_layout4gemm8RowMajorENS2_11ColumnMajorES3_aaaiNS_16tensor_operation12element_wise11PassThroughES7_S7_aaEEvPKT2_PKT3_PT4_iiiT6_T7_T8_.numbered_sgpr, 12
	.set _ZN2ck17naive_gemm_kernelINS_13tensor_layout4gemm8RowMajorENS2_11ColumnMajorES3_aaaiNS_16tensor_operation12element_wise11PassThroughES7_S7_aaEEvPKT2_PKT3_PT4_iiiT6_T7_T8_.num_named_barrier, 0
	.set _ZN2ck17naive_gemm_kernelINS_13tensor_layout4gemm8RowMajorENS2_11ColumnMajorES3_aaaiNS_16tensor_operation12element_wise11PassThroughES7_S7_aaEEvPKT2_PKT3_PT4_iiiT6_T7_T8_.private_seg_size, 0
	.set _ZN2ck17naive_gemm_kernelINS_13tensor_layout4gemm8RowMajorENS2_11ColumnMajorES3_aaaiNS_16tensor_operation12element_wise11PassThroughES7_S7_aaEEvPKT2_PKT3_PT4_iiiT6_T7_T8_.uses_vcc, 1
	.set _ZN2ck17naive_gemm_kernelINS_13tensor_layout4gemm8RowMajorENS2_11ColumnMajorES3_aaaiNS_16tensor_operation12element_wise11PassThroughES7_S7_aaEEvPKT2_PKT3_PT4_iiiT6_T7_T8_.uses_flat_scratch, 0
	.set _ZN2ck17naive_gemm_kernelINS_13tensor_layout4gemm8RowMajorENS2_11ColumnMajorES3_aaaiNS_16tensor_operation12element_wise11PassThroughES7_S7_aaEEvPKT2_PKT3_PT4_iiiT6_T7_T8_.has_dyn_sized_stack, 0
	.set _ZN2ck17naive_gemm_kernelINS_13tensor_layout4gemm8RowMajorENS2_11ColumnMajorES3_aaaiNS_16tensor_operation12element_wise11PassThroughES7_S7_aaEEvPKT2_PKT3_PT4_iiiT6_T7_T8_.has_recursion, 0
	.set _ZN2ck17naive_gemm_kernelINS_13tensor_layout4gemm8RowMajorENS2_11ColumnMajorES3_aaaiNS_16tensor_operation12element_wise11PassThroughES7_S7_aaEEvPKT2_PKT3_PT4_iiiT6_T7_T8_.has_indirect_call, 0
	.section	.AMDGPU.csdata,"",@progbits
; Kernel info:
; codeLenInByte = 360
; TotalNumSgprs: 14
; NumVgprs: 9
; ScratchSize: 0
; MemoryBound: 0
; FloatMode: 240
; IeeeMode: 1
; LDSByteSize: 0 bytes/workgroup (compile time only)
; SGPRBlocks: 0
; VGPRBlocks: 1
; NumSGPRsForWavesPerEU: 14
; NumVGPRsForWavesPerEU: 9
; Occupancy: 16
; WaveLimiterHint : 0
; COMPUTE_PGM_RSRC2:SCRATCH_EN: 0
; COMPUTE_PGM_RSRC2:USER_SGPR: 2
; COMPUTE_PGM_RSRC2:TRAP_HANDLER: 0
; COMPUTE_PGM_RSRC2:TGID_X_EN: 1
; COMPUTE_PGM_RSRC2:TGID_Y_EN: 1
; COMPUTE_PGM_RSRC2:TGID_Z_EN: 0
; COMPUTE_PGM_RSRC2:TIDIG_COMP_CNT: 1
	.section	.AMDGPU.gpr_maximums,"",@progbits
	.set amdgpu.max_num_vgpr, 0
	.set amdgpu.max_num_agpr, 0
	.set amdgpu.max_num_sgpr, 0
	.section	.AMDGPU.csdata,"",@progbits
	.type	__hip_cuid_c91358422d26821f,@object ; @__hip_cuid_c91358422d26821f
	.section	.bss,"aw",@nobits
	.globl	__hip_cuid_c91358422d26821f
__hip_cuid_c91358422d26821f:
	.byte	0                               ; 0x0
	.size	__hip_cuid_c91358422d26821f, 1

	.ident	"AMD clang version 22.0.0git (https://github.com/RadeonOpenCompute/llvm-project roc-7.2.4 26084 f58b06dce1f9c15707c5f808fd002e18c2accf7e)"
	.section	".note.GNU-stack","",@progbits
	.addrsig
	.addrsig_sym __hip_cuid_c91358422d26821f
	.amdgpu_metadata
---
amdhsa.kernels:
  - .args:           []
    .group_segment_fixed_size: 0
    .kernarg_segment_align: 4
    .kernarg_segment_size: 0
    .language:       OpenCL C
    .language_version:
      - 2
      - 0
    .max_flat_workgroup_size: 1024
    .name:           _ZN2ckL12flush_icacheEv
    .private_segment_fixed_size: 0
    .sgpr_count:     0
    .sgpr_spill_count: 0
    .symbol:         _ZN2ckL12flush_icacheEv.kd
    .uniform_work_group_size: 1
    .uses_dynamic_stack: false
    .vgpr_count:     0
    .vgpr_spill_count: 0
    .wavefront_size: 32
    .workgroup_processor_mode: 1
  - .args:
      - .actual_access:  read_only
        .address_space:  global
        .offset:         0
        .size:           8
        .value_kind:     global_buffer
      - .actual_access:  read_only
        .address_space:  global
        .offset:         8
        .size:           8
        .value_kind:     global_buffer
      - .actual_access:  write_only
        .address_space:  global
        .offset:         16
        .size:           8
        .value_kind:     global_buffer
      - .offset:         24
        .size:           72
        .value_kind:     by_value
      - .offset:         96
        .size:           72
        .value_kind:     by_value
      - .offset:         168
        .size:           80
        .value_kind:     by_value
      - .offset:         248
        .size:           1
        .value_kind:     by_value
      - .offset:         249
        .size:           1
        .value_kind:     by_value
      - .offset:         250
        .size:           1
        .value_kind:     by_value
      - .offset:         252
        .size:           12
        .value_kind:     by_value
    .group_segment_fixed_size: 12412
    .kernarg_segment_align: 8
    .kernarg_segment_size: 264
    .language:       OpenCL C
    .language_version:
      - 2
      - 0
    .max_flat_workgroup_size: 256
    .name:           _ZN2ck16kernel_gemm_wmmaINS_17GridwiseGemm_WmmaILi128EaaiiaLNS_25InMemoryDataOperationEnumE0ENS_16TensorDescriptorINS_5TupleIJNS_5EmbedINS4_IJiiEEENS4_IJiNS_17integral_constantIiLi1EEEEEELb0EEENS_8RightPadIiiLb0EEESC_NS_7UnMergeINS4_IJiNS7_IiLi2EEEEEELb0EEENS_11PassThroughIiEEEEENS4_IJNS_8SequenceIJLi0EEEENSK_IJLi1EEEENSK_IJLi2EEEENSK_IJLi4EEEENSK_IJLi3EEEEEEENS4_IJNSK_IJLi1ELi2EEEESP_SO_NSK_IJLi5ELi6EEEENSK_IJLi7EEEEEEENSK_IJLi5ELi7ELi6EEEElEESW_NS3_INS4_IJSA_SC_SC_EEENS4_IJSL_SM_SN_EEENS4_IJSR_SP_SO_EEENSK_IJLi3ELi4EEEElEENS_16tensor_operation12element_wise11PassThroughES14_S14_Li64ELi128ELi64ELi16ELi16ELi2ELi2ELi4ENSK_IJLi4ELi32ELi1EEEENSK_IJLi1ELi0ELi2EEEES16_Li2ELi2ELi2ELb0ELb1ELb1ES15_S16_S16_Li2ELi2ELi2ELb0ELb1ELb1ELi1ELi1ENSK_IJLi1ELi32ELi1ELi4EEEELi8ELi1ELNS_13LoopSchedulerE0ELNS_15PipelineVersionE0EEEaaaSW_SW_NS3_INS4_IJSA_SC_SC_NSD_INS4_IJiNS7_IiLi64EEEEEELb0EEENSD_INS4_IJiNS7_IiLi128EEEEEELb0EEEEEENS4_IJSL_SM_SN_SP_SO_EEENS4_IJSR_SP_SO_SS_NSK_IJLi7ELi8EEEEEEENSK_IJLi5ELi6ELi7ELi8EEEElEES14_S14_S14_NS_31BlockToCTileMap_M00_N0_M01AdaptILi64ELi128ES11_iEELb1EEEvPKT0_PKT1_PT2_T3_T4_T5_T6_T7_T8_T9_
    .private_segment_fixed_size: 0
    .sgpr_count:     59
    .sgpr_spill_count: 0
    .symbol:         _ZN2ck16kernel_gemm_wmmaINS_17GridwiseGemm_WmmaILi128EaaiiaLNS_25InMemoryDataOperationEnumE0ENS_16TensorDescriptorINS_5TupleIJNS_5EmbedINS4_IJiiEEENS4_IJiNS_17integral_constantIiLi1EEEEEELb0EEENS_8RightPadIiiLb0EEESC_NS_7UnMergeINS4_IJiNS7_IiLi2EEEEEELb0EEENS_11PassThroughIiEEEEENS4_IJNS_8SequenceIJLi0EEEENSK_IJLi1EEEENSK_IJLi2EEEENSK_IJLi4EEEENSK_IJLi3EEEEEEENS4_IJNSK_IJLi1ELi2EEEESP_SO_NSK_IJLi5ELi6EEEENSK_IJLi7EEEEEEENSK_IJLi5ELi7ELi6EEEElEESW_NS3_INS4_IJSA_SC_SC_EEENS4_IJSL_SM_SN_EEENS4_IJSR_SP_SO_EEENSK_IJLi3ELi4EEEElEENS_16tensor_operation12element_wise11PassThroughES14_S14_Li64ELi128ELi64ELi16ELi16ELi2ELi2ELi4ENSK_IJLi4ELi32ELi1EEEENSK_IJLi1ELi0ELi2EEEES16_Li2ELi2ELi2ELb0ELb1ELb1ES15_S16_S16_Li2ELi2ELi2ELb0ELb1ELb1ELi1ELi1ENSK_IJLi1ELi32ELi1ELi4EEEELi8ELi1ELNS_13LoopSchedulerE0ELNS_15PipelineVersionE0EEEaaaSW_SW_NS3_INS4_IJSA_SC_SC_NSD_INS4_IJiNS7_IiLi64EEEEEELb0EEENSD_INS4_IJiNS7_IiLi128EEEEEELb0EEEEEENS4_IJSL_SM_SN_SP_SO_EEENS4_IJSR_SP_SO_SS_NSK_IJLi7ELi8EEEEEEENSK_IJLi5ELi6ELi7ELi8EEEElEES14_S14_S14_NS_31BlockToCTileMap_M00_N0_M01AdaptILi64ELi128ES11_iEELb1EEEvPKT0_PKT1_PT2_T3_T4_T5_T6_T7_T8_T9_.kd
    .uniform_work_group_size: 1
    .uses_dynamic_stack: false
    .vgpr_count:     140
    .vgpr_spill_count: 0
    .wavefront_size: 32
    .workgroup_processor_mode: 1
  - .args:
      - .actual_access:  read_only
        .address_space:  global
        .offset:         0
        .size:           8
        .value_kind:     global_buffer
      - .actual_access:  read_only
        .address_space:  global
        .offset:         8
        .size:           8
        .value_kind:     global_buffer
      - .actual_access:  write_only
        .address_space:  global
        .offset:         16
        .size:           8
        .value_kind:     global_buffer
      - .offset:         24
        .size:           72
        .value_kind:     by_value
      - .offset:         96
        .size:           72
        .value_kind:     by_value
      - .offset:         168
        .size:           80
        .value_kind:     by_value
      - .offset:         248
        .size:           1
        .value_kind:     by_value
      - .offset:         249
        .size:           1
        .value_kind:     by_value
      - .offset:         250
        .size:           1
        .value_kind:     by_value
      - .offset:         252
        .size:           12
        .value_kind:     by_value
    .group_segment_fixed_size: 12412
    .kernarg_segment_align: 8
    .kernarg_segment_size: 264
    .language:       OpenCL C
    .language_version:
      - 2
      - 0
    .max_flat_workgroup_size: 256
    .name:           _ZN2ck16kernel_gemm_wmmaINS_17GridwiseGemm_WmmaILi128EaaiiaLNS_25InMemoryDataOperationEnumE0ENS_16TensorDescriptorINS_5TupleIJNS_5EmbedINS4_IJiiEEENS4_IJiNS_17integral_constantIiLi1EEEEEELb0EEENS_8RightPadIiiLb0EEESC_NS_7UnMergeINS4_IJiNS7_IiLi2EEEEEELb0EEENS_11PassThroughIiEEEEENS4_IJNS_8SequenceIJLi0EEEENSK_IJLi1EEEENSK_IJLi2EEEENSK_IJLi4EEEENSK_IJLi3EEEEEEENS4_IJNSK_IJLi1ELi2EEEESP_SO_NSK_IJLi5ELi6EEEENSK_IJLi7EEEEEEENSK_IJLi5ELi7ELi6EEEElEESW_NS3_INS4_IJSA_SC_SC_EEENS4_IJSL_SM_SN_EEENS4_IJSR_SP_SO_EEENSK_IJLi3ELi4EEEElEENS_16tensor_operation12element_wise11PassThroughES14_S14_Li64ELi128ELi64ELi16ELi16ELi2ELi2ELi4ENSK_IJLi4ELi32ELi1EEEENSK_IJLi1ELi0ELi2EEEES16_Li2ELi2ELi2ELb0ELb1ELb1ES15_S16_S16_Li2ELi2ELi2ELb0ELb1ELb1ELi1ELi1ENSK_IJLi1ELi32ELi1ELi4EEEELi8ELi1ELNS_13LoopSchedulerE0ELNS_15PipelineVersionE0EEEaaaSW_SW_NS3_INS4_IJSA_SC_SC_NSD_INS4_IJiNS7_IiLi64EEEEEELb0EEENSD_INS4_IJiNS7_IiLi128EEEEEELb0EEEEEENS4_IJSL_SM_SN_SP_SO_EEENS4_IJSR_SP_SO_SS_NSK_IJLi7ELi8EEEEEEENSK_IJLi5ELi6ELi7ELi8EEEElEES14_S14_S14_NS_31BlockToCTileMap_M00_N0_M01AdaptILi64ELi128ES11_iEELb0EEEvPKT0_PKT1_PT2_T3_T4_T5_T6_T7_T8_T9_
    .private_segment_fixed_size: 0
    .sgpr_count:     34
    .sgpr_spill_count: 0
    .symbol:         _ZN2ck16kernel_gemm_wmmaINS_17GridwiseGemm_WmmaILi128EaaiiaLNS_25InMemoryDataOperationEnumE0ENS_16TensorDescriptorINS_5TupleIJNS_5EmbedINS4_IJiiEEENS4_IJiNS_17integral_constantIiLi1EEEEEELb0EEENS_8RightPadIiiLb0EEESC_NS_7UnMergeINS4_IJiNS7_IiLi2EEEEEELb0EEENS_11PassThroughIiEEEEENS4_IJNS_8SequenceIJLi0EEEENSK_IJLi1EEEENSK_IJLi2EEEENSK_IJLi4EEEENSK_IJLi3EEEEEEENS4_IJNSK_IJLi1ELi2EEEESP_SO_NSK_IJLi5ELi6EEEENSK_IJLi7EEEEEEENSK_IJLi5ELi7ELi6EEEElEESW_NS3_INS4_IJSA_SC_SC_EEENS4_IJSL_SM_SN_EEENS4_IJSR_SP_SO_EEENSK_IJLi3ELi4EEEElEENS_16tensor_operation12element_wise11PassThroughES14_S14_Li64ELi128ELi64ELi16ELi16ELi2ELi2ELi4ENSK_IJLi4ELi32ELi1EEEENSK_IJLi1ELi0ELi2EEEES16_Li2ELi2ELi2ELb0ELb1ELb1ES15_S16_S16_Li2ELi2ELi2ELb0ELb1ELb1ELi1ELi1ENSK_IJLi1ELi32ELi1ELi4EEEELi8ELi1ELNS_13LoopSchedulerE0ELNS_15PipelineVersionE0EEEaaaSW_SW_NS3_INS4_IJSA_SC_SC_NSD_INS4_IJiNS7_IiLi64EEEEEELb0EEENSD_INS4_IJiNS7_IiLi128EEEEEELb0EEEEEENS4_IJSL_SM_SN_SP_SO_EEENS4_IJSR_SP_SO_SS_NSK_IJLi7ELi8EEEEEEENSK_IJLi5ELi6ELi7ELi8EEEElEES14_S14_S14_NS_31BlockToCTileMap_M00_N0_M01AdaptILi64ELi128ES11_iEELb0EEEvPKT0_PKT1_PT2_T3_T4_T5_T6_T7_T8_T9_.kd
    .uniform_work_group_size: 1
    .uses_dynamic_stack: false
    .vgpr_count:     82
    .vgpr_spill_count: 0
    .wavefront_size: 32
    .workgroup_processor_mode: 1
  - .args:
      - .actual_access:  read_only
        .address_space:  global
        .offset:         0
        .size:           8
        .value_kind:     global_buffer
      - .actual_access:  read_only
        .address_space:  global
        .offset:         8
        .size:           8
        .value_kind:     global_buffer
      - .actual_access:  write_only
        .address_space:  global
        .offset:         16
        .size:           8
        .value_kind:     global_buffer
      - .offset:         24
        .size:           4
        .value_kind:     by_value
      - .offset:         28
        .size:           4
        .value_kind:     by_value
      - .offset:         32
        .size:           4
        .value_kind:     by_value
      - .offset:         36
        .size:           1
        .value_kind:     by_value
      - .offset:         37
        .size:           1
        .value_kind:     by_value
      - .offset:         38
        .size:           1
        .value_kind:     by_value
      - .offset:         40
        .size:           4
        .value_kind:     hidden_block_count_x
      - .offset:         44
        .size:           4
        .value_kind:     hidden_block_count_y
      - .offset:         48
        .size:           4
        .value_kind:     hidden_block_count_z
      - .offset:         52
        .size:           2
        .value_kind:     hidden_group_size_x
      - .offset:         54
        .size:           2
        .value_kind:     hidden_group_size_y
      - .offset:         56
        .size:           2
        .value_kind:     hidden_group_size_z
      - .offset:         58
        .size:           2
        .value_kind:     hidden_remainder_x
      - .offset:         60
        .size:           2
        .value_kind:     hidden_remainder_y
      - .offset:         62
        .size:           2
        .value_kind:     hidden_remainder_z
      - .offset:         80
        .size:           8
        .value_kind:     hidden_global_offset_x
      - .offset:         88
        .size:           8
        .value_kind:     hidden_global_offset_y
      - .offset:         96
        .size:           8
        .value_kind:     hidden_global_offset_z
      - .offset:         104
        .size:           2
        .value_kind:     hidden_grid_dims
    .group_segment_fixed_size: 0
    .kernarg_segment_align: 8
    .kernarg_segment_size: 296
    .language:       OpenCL C
    .language_version:
      - 2
      - 0
    .max_flat_workgroup_size: 256
    .name:           _ZN2ck17naive_gemm_kernelINS_13tensor_layout4gemm8RowMajorENS2_11ColumnMajorES3_aaaiNS_16tensor_operation12element_wise11PassThroughES7_S7_aaEEvPKT2_PKT3_PT4_iiiT6_T7_T8_
    .private_segment_fixed_size: 0
    .sgpr_count:     14
    .sgpr_spill_count: 0
    .symbol:         _ZN2ck17naive_gemm_kernelINS_13tensor_layout4gemm8RowMajorENS2_11ColumnMajorES3_aaaiNS_16tensor_operation12element_wise11PassThroughES7_S7_aaEEvPKT2_PKT3_PT4_iiiT6_T7_T8_.kd
    .uniform_work_group_size: 1
    .uses_dynamic_stack: false
    .vgpr_count:     9
    .vgpr_spill_count: 0
    .wavefront_size: 32
    .workgroup_processor_mode: 1
amdhsa.target:   amdgcn-amd-amdhsa--gfx1201
amdhsa.version:
  - 1
  - 2
...

	.end_amdgpu_metadata
